;; amdgpu-corpus repo=ROCm/rocSPARSE kind=compiled arch=gfx906 opt=O3
	.amdgcn_target "amdgcn-amd-amdhsa--gfx906"
	.amdhsa_code_object_version 6
	.section	.text._ZN9rocsparseL14csr2coo_kernelILj256ELj2EiiEEvT2_PKT1_S4_PS1_21rocsparse_index_base_,"axG",@progbits,_ZN9rocsparseL14csr2coo_kernelILj256ELj2EiiEEvT2_PKT1_S4_PS1_21rocsparse_index_base_,comdat
	.globl	_ZN9rocsparseL14csr2coo_kernelILj256ELj2EiiEEvT2_PKT1_S4_PS1_21rocsparse_index_base_ ; -- Begin function _ZN9rocsparseL14csr2coo_kernelILj256ELj2EiiEEvT2_PKT1_S4_PS1_21rocsparse_index_base_
	.p2align	8
	.type	_ZN9rocsparseL14csr2coo_kernelILj256ELj2EiiEEvT2_PKT1_S4_PS1_21rocsparse_index_base_,@function
_ZN9rocsparseL14csr2coo_kernelILj256ELj2EiiEEvT2_PKT1_S4_PS1_21rocsparse_index_base_: ; @_ZN9rocsparseL14csr2coo_kernelILj256ELj2EiiEEvT2_PKT1_S4_PS1_21rocsparse_index_base_
; %bb.0:
	s_load_dword s14, s[4:5], 0x0
	s_load_dwordx4 s[8:11], s[4:5], 0x8
	s_load_dwordx2 s[2:3], s[4:5], 0x18
	s_load_dword s15, s[4:5], 0x20
	v_mov_b32_e32 v1, 1
	v_lshrrev_b32_e32 v4, 1, v0
	v_mov_b32_e32 v5, 0
	s_lshl_b32 s16, s6, 7
	ds_write_b32 v5, v1 offset:512
	v_or_b32_e32 v1, s16, v4
	s_waitcnt lgkmcnt(0)
	v_cmp_gt_i32_e32 vcc, s14, v1
	v_ashrrev_i32_e32 v2, 31, v1
	v_mov_b32_e32 v3, 0
	s_barrier
	s_and_saveexec_b64 s[4:5], vcc
	s_cbranch_execz .LBB0_2
; %bb.1:
	v_lshlrev_b64 v[6:7], 2, v[1:2]
	v_mov_b32_e32 v3, s9
	v_add_co_u32_e64 v6, s[0:1], s8, v6
	v_addc_co_u32_e64 v7, s[0:1], v3, v7, s[0:1]
	global_load_dword v3, v[6:7], off
	s_waitcnt vmcnt(0)
	v_subrev_u32_e32 v3, s15, v3
.LBB0_2:
	s_or_b64 exec, exec, s[4:5]
	s_and_saveexec_b64 s[0:1], vcc
	s_cbranch_execz .LBB0_4
; %bb.3:
	v_lshlrev_b64 v[5:6], 2, v[1:2]
	v_mov_b32_e32 v2, s11
	v_add_co_u32_e32 v5, vcc, s10, v5
	v_addc_co_u32_e32 v6, vcc, v2, v6, vcc
	global_load_dword v2, v[5:6], off
	s_waitcnt vmcnt(0)
	v_subrev_u32_e32 v5, s15, v2
.LBB0_4:
	s_or_b64 exec, exec, s[0:1]
	v_sub_u32_e32 v2, v5, v3
	v_cmp_gt_u32_e32 vcc, 17, v2
	v_cmp_lt_u32_e64 s[0:1], 16, v2
	s_and_saveexec_b64 s[4:5], s[0:1]
	s_xor_b64 s[0:1], exec, s[4:5]
; %bb.5:
	v_mov_b32_e32 v1, 0
	ds_write_b32 v1, v1 offset:512
                                        ; implicit-def: $vgpr3
                                        ; implicit-def: $vgpr5
                                        ; implicit-def: $vgpr1
; %bb.6:
	s_andn2_saveexec_b64 s[4:5], s[0:1]
	s_cbranch_execz .LBB0_11
; %bb.7:
	v_and_b32_e32 v2, 1, v0
	v_add_u32_e32 v2, v3, v2
	v_cmp_lt_i32_e64 s[0:1], v2, v5
	s_and_saveexec_b64 s[6:7], s[0:1]
	s_cbranch_execz .LBB0_10
; %bb.8:
	v_add_u32_e32 v1, s15, v1
	s_mov_b64 s[12:13], 0
	v_mov_b32_e32 v6, s3
.LBB0_9:                                ; =>This Inner Loop Header: Depth=1
	v_ashrrev_i32_e32 v3, 31, v2
	v_lshlrev_b64 v[7:8], 2, v[2:3]
	v_add_u32_e32 v2, 2, v2
	v_add_co_u32_e64 v7, s[0:1], s2, v7
	v_addc_co_u32_e64 v8, s[0:1], v6, v8, s[0:1]
	v_cmp_ge_i32_e64 s[0:1], v2, v5
	s_or_b64 s[12:13], s[0:1], s[12:13]
	global_store_dword v[7:8], v1, off
	s_andn2_b64 exec, exec, s[12:13]
	s_cbranch_execnz .LBB0_9
.LBB0_10:
	s_or_b64 exec, exec, s[6:7]
.LBB0_11:
	s_or_b64 exec, exec, s[4:5]
	v_cndmask_b32_e64 v1, 0, 1, vcc
	v_lshlrev_b32_e32 v2, 2, v4
	v_mov_b32_e32 v3, 0
	ds_write_b32 v2, v1
	s_waitcnt vmcnt(0) lgkmcnt(0)
	s_barrier
	ds_read_b32 v1, v3 offset:512
	s_mov_b32 s6, 0
	s_waitcnt lgkmcnt(0)
	v_cmp_ne_u32_e32 vcc, 0, v1
	s_cbranch_vccz .LBB0_13
.LBB0_12:
	s_endpgm
.LBB0_13:
	s_or_b32 s7, s16, 1
	s_ashr_i32 s12, s16, 31
	s_branch .LBB0_16
.LBB0_14:                               ;   in Loop: Header=BB0_16 Depth=1
	s_or_b64 exec, exec, s[0:1]
.LBB0_15:                               ;   in Loop: Header=BB0_16 Depth=1
	s_add_i32 s6, s6, 2
	s_cmpk_lg_i32 s6, 0x80
	s_cbranch_scc0 .LBB0_12
.LBB0_16:                               ; =>This Loop Header: Depth=1
                                        ;     Child Loop BB0_23 Depth 2
                                        ;     Child Loop BB0_32 Depth 2
	s_lshl_b32 s13, s6, 2
	v_mov_b32_e32 v1, s13
	ds_read_b32 v1, v1
	s_waitcnt lgkmcnt(0)
	v_cmp_ne_u32_e32 vcc, 0, v1
	s_cbranch_vccnz .LBB0_25
; %bb.17:                               ;   in Loop: Header=BB0_16 Depth=1
	s_or_b32 s0, s6, s16
	s_cmp_lt_i32 s0, s14
	s_cselect_b64 s[4:5], -1, 0
	s_cmp_ge_i32 s0, s14
	v_mov_b32_e32 v4, 0
	v_mov_b32_e32 v1, 0
	s_cbranch_scc0 .LBB0_20
; %bb.18:                               ;   in Loop: Header=BB0_16 Depth=1
	s_andn2_b64 vcc, exec, s[4:5]
	s_cbranch_vccz .LBB0_21
.LBB0_19:                               ;   in Loop: Header=BB0_16 Depth=1
	v_add_u32_e32 v1, v1, v0
	v_cmp_lt_i32_e32 vcc, v1, v4
	s_and_saveexec_b64 s[4:5], vcc
	s_cbranch_execnz .LBB0_22
	s_branch .LBB0_24
.LBB0_20:                               ;   in Loop: Header=BB0_16 Depth=1
	s_ashr_i32 s1, s0, 31
	s_lshl_b64 s[18:19], s[0:1], 2
	s_add_u32 s18, s8, s18
	s_addc_u32 s19, s9, s19
	global_load_dword v1, v3, s[18:19]
	s_waitcnt vmcnt(0)
	v_subrev_u32_e32 v1, s15, v1
	s_andn2_b64 vcc, exec, s[4:5]
	s_cbranch_vccnz .LBB0_19
.LBB0_21:                               ;   in Loop: Header=BB0_16 Depth=1
	s_ashr_i32 s1, s0, 31
	s_lshl_b64 s[4:5], s[0:1], 2
	s_add_u32 s4, s10, s4
	s_addc_u32 s5, s11, s5
	global_load_dword v2, v3, s[4:5]
	s_waitcnt vmcnt(0)
	v_subrev_u32_e32 v4, s15, v2
	v_add_u32_e32 v1, v1, v0
	v_cmp_lt_i32_e32 vcc, v1, v4
	s_and_saveexec_b64 s[4:5], vcc
	s_cbranch_execz .LBB0_24
.LBB0_22:                               ;   in Loop: Header=BB0_16 Depth=1
	s_add_i32 s17, s0, s15
	s_mov_b64 s[0:1], 0
.LBB0_23:                               ;   Parent Loop BB0_16 Depth=1
                                        ; =>  This Inner Loop Header: Depth=2
	v_ashrrev_i32_e32 v2, 31, v1
	v_lshlrev_b64 v[5:6], 2, v[1:2]
	v_mov_b32_e32 v2, s3
	v_add_co_u32_e32 v5, vcc, s2, v5
	v_addc_co_u32_e32 v6, vcc, v2, v6, vcc
	v_add_u32_e32 v1, 0x100, v1
	v_cmp_ge_i32_e32 vcc, v1, v4
	v_mov_b32_e32 v2, s17
	s_or_b64 s[0:1], vcc, s[0:1]
	global_store_dword v[5:6], v2, off
	s_andn2_b64 exec, exec, s[0:1]
	s_cbranch_execnz .LBB0_23
.LBB0_24:                               ;   in Loop: Header=BB0_16 Depth=1
	s_or_b64 exec, exec, s[4:5]
.LBB0_25:                               ;   in Loop: Header=BB0_16 Depth=1
	v_mov_b32_e32 v1, s13
	ds_read_b32 v1, v1 offset:4
	s_waitcnt lgkmcnt(0)
	v_cmp_ne_u32_e32 vcc, 0, v1
	s_cbranch_vccnz .LBB0_15
; %bb.26:                               ;   in Loop: Header=BB0_16 Depth=1
	s_or_b32 s4, s6, s7
	s_cmp_lt_i32 s4, s14
	s_cselect_b64 s[0:1], -1, 0
	s_cmp_ge_i32 s4, s14
	v_mov_b32_e32 v4, 0
	v_mov_b32_e32 v1, 0
	s_cbranch_scc0 .LBB0_29
; %bb.27:                               ;   in Loop: Header=BB0_16 Depth=1
	s_andn2_b64 vcc, exec, s[0:1]
	s_cbranch_vccz .LBB0_30
.LBB0_28:                               ;   in Loop: Header=BB0_16 Depth=1
	v_add_u32_e32 v1, v1, v0
	v_cmp_lt_i32_e32 vcc, v1, v4
	s_and_saveexec_b64 s[0:1], vcc
	s_cbranch_execz .LBB0_14
	s_branch .LBB0_31
.LBB0_29:                               ;   in Loop: Header=BB0_16 Depth=1
	s_ashr_i32 s5, s6, 31
	s_add_u32 s18, s6, s16
	s_addc_u32 s19, s5, s12
	s_lshl_b64 s[18:19], s[18:19], 2
	s_add_u32 s18, s8, s18
	s_addc_u32 s19, s9, s19
	global_load_dword v1, v3, s[18:19] offset:4
	s_waitcnt vmcnt(0)
	v_subrev_u32_e32 v1, s15, v1
	s_andn2_b64 vcc, exec, s[0:1]
	s_cbranch_vccnz .LBB0_28
.LBB0_30:                               ;   in Loop: Header=BB0_16 Depth=1
	s_ashr_i32 s1, s6, 31
	s_add_u32 s0, s6, s16
	s_addc_u32 s1, s1, s12
	s_lshl_b64 s[0:1], s[0:1], 2
	s_add_u32 s0, s10, s0
	s_addc_u32 s1, s11, s1
	global_load_dword v2, v3, s[0:1] offset:4
	s_waitcnt vmcnt(0)
	v_subrev_u32_e32 v4, s15, v2
	v_add_u32_e32 v1, v1, v0
	v_cmp_lt_i32_e32 vcc, v1, v4
	s_and_saveexec_b64 s[0:1], vcc
	s_cbranch_execz .LBB0_14
.LBB0_31:                               ;   in Loop: Header=BB0_16 Depth=1
	s_add_i32 s13, s4, s15
	s_mov_b64 s[4:5], 0
.LBB0_32:                               ;   Parent Loop BB0_16 Depth=1
                                        ; =>  This Inner Loop Header: Depth=2
	v_ashrrev_i32_e32 v2, 31, v1
	v_lshlrev_b64 v[5:6], 2, v[1:2]
	v_mov_b32_e32 v2, s3
	v_add_co_u32_e32 v5, vcc, s2, v5
	v_addc_co_u32_e32 v6, vcc, v2, v6, vcc
	v_add_u32_e32 v1, 0x100, v1
	v_cmp_ge_i32_e32 vcc, v1, v4
	v_mov_b32_e32 v2, s13
	s_or_b64 s[4:5], vcc, s[4:5]
	global_store_dword v[5:6], v2, off
	s_andn2_b64 exec, exec, s[4:5]
	s_cbranch_execnz .LBB0_32
	s_branch .LBB0_14
	.section	.rodata,"a",@progbits
	.p2align	6, 0x0
	.amdhsa_kernel _ZN9rocsparseL14csr2coo_kernelILj256ELj2EiiEEvT2_PKT1_S4_PS1_21rocsparse_index_base_
		.amdhsa_group_segment_fixed_size 516
		.amdhsa_private_segment_fixed_size 0
		.amdhsa_kernarg_size 36
		.amdhsa_user_sgpr_count 6
		.amdhsa_user_sgpr_private_segment_buffer 1
		.amdhsa_user_sgpr_dispatch_ptr 0
		.amdhsa_user_sgpr_queue_ptr 0
		.amdhsa_user_sgpr_kernarg_segment_ptr 1
		.amdhsa_user_sgpr_dispatch_id 0
		.amdhsa_user_sgpr_flat_scratch_init 0
		.amdhsa_user_sgpr_private_segment_size 0
		.amdhsa_uses_dynamic_stack 0
		.amdhsa_system_sgpr_private_segment_wavefront_offset 0
		.amdhsa_system_sgpr_workgroup_id_x 1
		.amdhsa_system_sgpr_workgroup_id_y 0
		.amdhsa_system_sgpr_workgroup_id_z 0
		.amdhsa_system_sgpr_workgroup_info 0
		.amdhsa_system_vgpr_workitem_id 0
		.amdhsa_next_free_vgpr 9
		.amdhsa_next_free_sgpr 20
		.amdhsa_reserve_vcc 1
		.amdhsa_reserve_flat_scratch 0
		.amdhsa_float_round_mode_32 0
		.amdhsa_float_round_mode_16_64 0
		.amdhsa_float_denorm_mode_32 3
		.amdhsa_float_denorm_mode_16_64 3
		.amdhsa_dx10_clamp 1
		.amdhsa_ieee_mode 1
		.amdhsa_fp16_overflow 0
		.amdhsa_exception_fp_ieee_invalid_op 0
		.amdhsa_exception_fp_denorm_src 0
		.amdhsa_exception_fp_ieee_div_zero 0
		.amdhsa_exception_fp_ieee_overflow 0
		.amdhsa_exception_fp_ieee_underflow 0
		.amdhsa_exception_fp_ieee_inexact 0
		.amdhsa_exception_int_div_zero 0
	.end_amdhsa_kernel
	.section	.text._ZN9rocsparseL14csr2coo_kernelILj256ELj2EiiEEvT2_PKT1_S4_PS1_21rocsparse_index_base_,"axG",@progbits,_ZN9rocsparseL14csr2coo_kernelILj256ELj2EiiEEvT2_PKT1_S4_PS1_21rocsparse_index_base_,comdat
.Lfunc_end0:
	.size	_ZN9rocsparseL14csr2coo_kernelILj256ELj2EiiEEvT2_PKT1_S4_PS1_21rocsparse_index_base_, .Lfunc_end0-_ZN9rocsparseL14csr2coo_kernelILj256ELj2EiiEEvT2_PKT1_S4_PS1_21rocsparse_index_base_
                                        ; -- End function
	.set _ZN9rocsparseL14csr2coo_kernelILj256ELj2EiiEEvT2_PKT1_S4_PS1_21rocsparse_index_base_.num_vgpr, 9
	.set _ZN9rocsparseL14csr2coo_kernelILj256ELj2EiiEEvT2_PKT1_S4_PS1_21rocsparse_index_base_.num_agpr, 0
	.set _ZN9rocsparseL14csr2coo_kernelILj256ELj2EiiEEvT2_PKT1_S4_PS1_21rocsparse_index_base_.numbered_sgpr, 20
	.set _ZN9rocsparseL14csr2coo_kernelILj256ELj2EiiEEvT2_PKT1_S4_PS1_21rocsparse_index_base_.num_named_barrier, 0
	.set _ZN9rocsparseL14csr2coo_kernelILj256ELj2EiiEEvT2_PKT1_S4_PS1_21rocsparse_index_base_.private_seg_size, 0
	.set _ZN9rocsparseL14csr2coo_kernelILj256ELj2EiiEEvT2_PKT1_S4_PS1_21rocsparse_index_base_.uses_vcc, 1
	.set _ZN9rocsparseL14csr2coo_kernelILj256ELj2EiiEEvT2_PKT1_S4_PS1_21rocsparse_index_base_.uses_flat_scratch, 0
	.set _ZN9rocsparseL14csr2coo_kernelILj256ELj2EiiEEvT2_PKT1_S4_PS1_21rocsparse_index_base_.has_dyn_sized_stack, 0
	.set _ZN9rocsparseL14csr2coo_kernelILj256ELj2EiiEEvT2_PKT1_S4_PS1_21rocsparse_index_base_.has_recursion, 0
	.set _ZN9rocsparseL14csr2coo_kernelILj256ELj2EiiEEvT2_PKT1_S4_PS1_21rocsparse_index_base_.has_indirect_call, 0
	.section	.AMDGPU.csdata,"",@progbits
; Kernel info:
; codeLenInByte = 920
; TotalNumSgprs: 24
; NumVgprs: 9
; ScratchSize: 0
; MemoryBound: 0
; FloatMode: 240
; IeeeMode: 1
; LDSByteSize: 516 bytes/workgroup (compile time only)
; SGPRBlocks: 2
; VGPRBlocks: 2
; NumSGPRsForWavesPerEU: 24
; NumVGPRsForWavesPerEU: 9
; Occupancy: 10
; WaveLimiterHint : 0
; COMPUTE_PGM_RSRC2:SCRATCH_EN: 0
; COMPUTE_PGM_RSRC2:USER_SGPR: 6
; COMPUTE_PGM_RSRC2:TRAP_HANDLER: 0
; COMPUTE_PGM_RSRC2:TGID_X_EN: 1
; COMPUTE_PGM_RSRC2:TGID_Y_EN: 0
; COMPUTE_PGM_RSRC2:TGID_Z_EN: 0
; COMPUTE_PGM_RSRC2:TIDIG_COMP_CNT: 0
	.section	.text._ZN9rocsparseL14csr2coo_kernelILj256ELj4EiiEEvT2_PKT1_S4_PS1_21rocsparse_index_base_,"axG",@progbits,_ZN9rocsparseL14csr2coo_kernelILj256ELj4EiiEEvT2_PKT1_S4_PS1_21rocsparse_index_base_,comdat
	.globl	_ZN9rocsparseL14csr2coo_kernelILj256ELj4EiiEEvT2_PKT1_S4_PS1_21rocsparse_index_base_ ; -- Begin function _ZN9rocsparseL14csr2coo_kernelILj256ELj4EiiEEvT2_PKT1_S4_PS1_21rocsparse_index_base_
	.p2align	8
	.type	_ZN9rocsparseL14csr2coo_kernelILj256ELj4EiiEEvT2_PKT1_S4_PS1_21rocsparse_index_base_,@function
_ZN9rocsparseL14csr2coo_kernelILj256ELj4EiiEEvT2_PKT1_S4_PS1_21rocsparse_index_base_: ; @_ZN9rocsparseL14csr2coo_kernelILj256ELj4EiiEEvT2_PKT1_S4_PS1_21rocsparse_index_base_
; %bb.0:
	s_load_dword s14, s[4:5], 0x0
	s_load_dwordx4 s[8:11], s[4:5], 0x8
	s_load_dwordx2 s[2:3], s[4:5], 0x18
	s_load_dword s15, s[4:5], 0x20
	v_lshrrev_b32_e32 v4, 2, v0
	v_mov_b32_e32 v1, 1
	v_mov_b32_e32 v5, 0
	s_lshl_b32 s16, s6, 6
	ds_write_b32 v5, v1 offset:256
	v_or_b32_e32 v1, s16, v4
	s_waitcnt lgkmcnt(0)
	v_cmp_gt_i32_e32 vcc, s14, v1
	v_ashrrev_i32_e32 v2, 31, v1
	v_mov_b32_e32 v3, 0
	s_barrier
	s_and_saveexec_b64 s[4:5], vcc
	s_cbranch_execz .LBB1_2
; %bb.1:
	v_lshlrev_b64 v[6:7], 2, v[1:2]
	v_mov_b32_e32 v3, s9
	v_add_co_u32_e64 v6, s[0:1], s8, v6
	v_addc_co_u32_e64 v7, s[0:1], v3, v7, s[0:1]
	global_load_dword v3, v[6:7], off
	s_waitcnt vmcnt(0)
	v_subrev_u32_e32 v3, s15, v3
.LBB1_2:
	s_or_b64 exec, exec, s[4:5]
	s_and_saveexec_b64 s[0:1], vcc
	s_cbranch_execz .LBB1_4
; %bb.3:
	v_lshlrev_b64 v[5:6], 2, v[1:2]
	v_mov_b32_e32 v2, s11
	v_add_co_u32_e32 v5, vcc, s10, v5
	v_addc_co_u32_e32 v6, vcc, v2, v6, vcc
	global_load_dword v2, v[5:6], off
	s_waitcnt vmcnt(0)
	v_subrev_u32_e32 v5, s15, v2
.LBB1_4:
	s_or_b64 exec, exec, s[0:1]
	v_sub_u32_e32 v2, v5, v3
	v_cmp_gt_u32_e32 vcc, 33, v2
	v_cmp_lt_u32_e64 s[0:1], 32, v2
	s_and_saveexec_b64 s[4:5], s[0:1]
	s_xor_b64 s[0:1], exec, s[4:5]
; %bb.5:
	v_mov_b32_e32 v1, 0
	ds_write_b32 v1, v1 offset:256
                                        ; implicit-def: $vgpr3
                                        ; implicit-def: $vgpr5
                                        ; implicit-def: $vgpr1
; %bb.6:
	s_andn2_saveexec_b64 s[4:5], s[0:1]
	s_cbranch_execz .LBB1_11
; %bb.7:
	v_and_b32_e32 v2, 3, v0
	v_add_u32_e32 v2, v3, v2
	v_cmp_lt_i32_e64 s[0:1], v2, v5
	s_and_saveexec_b64 s[6:7], s[0:1]
	s_cbranch_execz .LBB1_10
; %bb.8:
	v_add_u32_e32 v1, s15, v1
	s_mov_b64 s[12:13], 0
	v_mov_b32_e32 v6, s3
.LBB1_9:                                ; =>This Inner Loop Header: Depth=1
	v_ashrrev_i32_e32 v3, 31, v2
	v_lshlrev_b64 v[7:8], 2, v[2:3]
	v_add_u32_e32 v2, 4, v2
	v_add_co_u32_e64 v7, s[0:1], s2, v7
	v_addc_co_u32_e64 v8, s[0:1], v6, v8, s[0:1]
	v_cmp_ge_i32_e64 s[0:1], v2, v5
	s_or_b64 s[12:13], s[0:1], s[12:13]
	global_store_dword v[7:8], v1, off
	s_andn2_b64 exec, exec, s[12:13]
	s_cbranch_execnz .LBB1_9
.LBB1_10:
	s_or_b64 exec, exec, s[6:7]
.LBB1_11:
	s_or_b64 exec, exec, s[4:5]
	v_cndmask_b32_e64 v1, 0, 1, vcc
	v_lshlrev_b32_e32 v2, 2, v4
	v_mov_b32_e32 v3, 0
	ds_write_b32 v2, v1
	s_waitcnt vmcnt(0) lgkmcnt(0)
	s_barrier
	ds_read_b32 v1, v3 offset:256
	s_mov_b32 s6, 0
	s_waitcnt lgkmcnt(0)
	v_cmp_ne_u32_e32 vcc, 0, v1
	s_cbranch_vccz .LBB1_13
.LBB1_12:
	s_endpgm
.LBB1_13:
	s_or_b32 s7, s16, 1
	s_ashr_i32 s12, s16, 31
	s_branch .LBB1_16
.LBB1_14:                               ;   in Loop: Header=BB1_16 Depth=1
	s_or_b64 exec, exec, s[0:1]
.LBB1_15:                               ;   in Loop: Header=BB1_16 Depth=1
	s_add_i32 s6, s6, 2
	s_cmp_lg_u32 s6, 64
	s_cbranch_scc0 .LBB1_12
.LBB1_16:                               ; =>This Loop Header: Depth=1
                                        ;     Child Loop BB1_23 Depth 2
                                        ;     Child Loop BB1_32 Depth 2
	s_lshl_b32 s13, s6, 2
	v_mov_b32_e32 v1, s13
	ds_read_b32 v1, v1
	s_waitcnt lgkmcnt(0)
	v_cmp_ne_u32_e32 vcc, 0, v1
	s_cbranch_vccnz .LBB1_25
; %bb.17:                               ;   in Loop: Header=BB1_16 Depth=1
	s_or_b32 s0, s6, s16
	s_cmp_lt_i32 s0, s14
	s_cselect_b64 s[4:5], -1, 0
	s_cmp_ge_i32 s0, s14
	v_mov_b32_e32 v4, 0
	v_mov_b32_e32 v1, 0
	s_cbranch_scc0 .LBB1_20
; %bb.18:                               ;   in Loop: Header=BB1_16 Depth=1
	s_andn2_b64 vcc, exec, s[4:5]
	s_cbranch_vccz .LBB1_21
.LBB1_19:                               ;   in Loop: Header=BB1_16 Depth=1
	v_add_u32_e32 v1, v1, v0
	v_cmp_lt_i32_e32 vcc, v1, v4
	s_and_saveexec_b64 s[4:5], vcc
	s_cbranch_execnz .LBB1_22
	s_branch .LBB1_24
.LBB1_20:                               ;   in Loop: Header=BB1_16 Depth=1
	s_ashr_i32 s1, s0, 31
	s_lshl_b64 s[18:19], s[0:1], 2
	s_add_u32 s18, s8, s18
	s_addc_u32 s19, s9, s19
	global_load_dword v1, v3, s[18:19]
	s_waitcnt vmcnt(0)
	v_subrev_u32_e32 v1, s15, v1
	s_andn2_b64 vcc, exec, s[4:5]
	s_cbranch_vccnz .LBB1_19
.LBB1_21:                               ;   in Loop: Header=BB1_16 Depth=1
	s_ashr_i32 s1, s0, 31
	s_lshl_b64 s[4:5], s[0:1], 2
	s_add_u32 s4, s10, s4
	s_addc_u32 s5, s11, s5
	global_load_dword v2, v3, s[4:5]
	s_waitcnt vmcnt(0)
	v_subrev_u32_e32 v4, s15, v2
	v_add_u32_e32 v1, v1, v0
	v_cmp_lt_i32_e32 vcc, v1, v4
	s_and_saveexec_b64 s[4:5], vcc
	s_cbranch_execz .LBB1_24
.LBB1_22:                               ;   in Loop: Header=BB1_16 Depth=1
	s_add_i32 s17, s0, s15
	s_mov_b64 s[0:1], 0
.LBB1_23:                               ;   Parent Loop BB1_16 Depth=1
                                        ; =>  This Inner Loop Header: Depth=2
	v_ashrrev_i32_e32 v2, 31, v1
	v_lshlrev_b64 v[5:6], 2, v[1:2]
	v_mov_b32_e32 v2, s3
	v_add_co_u32_e32 v5, vcc, s2, v5
	v_addc_co_u32_e32 v6, vcc, v2, v6, vcc
	v_add_u32_e32 v1, 0x100, v1
	v_cmp_ge_i32_e32 vcc, v1, v4
	v_mov_b32_e32 v2, s17
	s_or_b64 s[0:1], vcc, s[0:1]
	global_store_dword v[5:6], v2, off
	s_andn2_b64 exec, exec, s[0:1]
	s_cbranch_execnz .LBB1_23
.LBB1_24:                               ;   in Loop: Header=BB1_16 Depth=1
	s_or_b64 exec, exec, s[4:5]
.LBB1_25:                               ;   in Loop: Header=BB1_16 Depth=1
	v_mov_b32_e32 v1, s13
	ds_read_b32 v1, v1 offset:4
	s_waitcnt lgkmcnt(0)
	v_cmp_ne_u32_e32 vcc, 0, v1
	s_cbranch_vccnz .LBB1_15
; %bb.26:                               ;   in Loop: Header=BB1_16 Depth=1
	s_or_b32 s4, s6, s7
	s_cmp_lt_i32 s4, s14
	s_cselect_b64 s[0:1], -1, 0
	s_cmp_ge_i32 s4, s14
	v_mov_b32_e32 v4, 0
	v_mov_b32_e32 v1, 0
	s_cbranch_scc0 .LBB1_29
; %bb.27:                               ;   in Loop: Header=BB1_16 Depth=1
	s_andn2_b64 vcc, exec, s[0:1]
	s_cbranch_vccz .LBB1_30
.LBB1_28:                               ;   in Loop: Header=BB1_16 Depth=1
	v_add_u32_e32 v1, v1, v0
	v_cmp_lt_i32_e32 vcc, v1, v4
	s_and_saveexec_b64 s[0:1], vcc
	s_cbranch_execz .LBB1_14
	s_branch .LBB1_31
.LBB1_29:                               ;   in Loop: Header=BB1_16 Depth=1
	s_ashr_i32 s5, s6, 31
	s_add_u32 s18, s6, s16
	s_addc_u32 s19, s5, s12
	s_lshl_b64 s[18:19], s[18:19], 2
	s_add_u32 s18, s8, s18
	s_addc_u32 s19, s9, s19
	global_load_dword v1, v3, s[18:19] offset:4
	s_waitcnt vmcnt(0)
	v_subrev_u32_e32 v1, s15, v1
	s_andn2_b64 vcc, exec, s[0:1]
	s_cbranch_vccnz .LBB1_28
.LBB1_30:                               ;   in Loop: Header=BB1_16 Depth=1
	s_ashr_i32 s1, s6, 31
	s_add_u32 s0, s6, s16
	s_addc_u32 s1, s1, s12
	s_lshl_b64 s[0:1], s[0:1], 2
	s_add_u32 s0, s10, s0
	s_addc_u32 s1, s11, s1
	global_load_dword v2, v3, s[0:1] offset:4
	s_waitcnt vmcnt(0)
	v_subrev_u32_e32 v4, s15, v2
	v_add_u32_e32 v1, v1, v0
	v_cmp_lt_i32_e32 vcc, v1, v4
	s_and_saveexec_b64 s[0:1], vcc
	s_cbranch_execz .LBB1_14
.LBB1_31:                               ;   in Loop: Header=BB1_16 Depth=1
	s_add_i32 s13, s4, s15
	s_mov_b64 s[4:5], 0
.LBB1_32:                               ;   Parent Loop BB1_16 Depth=1
                                        ; =>  This Inner Loop Header: Depth=2
	v_ashrrev_i32_e32 v2, 31, v1
	v_lshlrev_b64 v[5:6], 2, v[1:2]
	v_mov_b32_e32 v2, s3
	v_add_co_u32_e32 v5, vcc, s2, v5
	v_addc_co_u32_e32 v6, vcc, v2, v6, vcc
	v_add_u32_e32 v1, 0x100, v1
	v_cmp_ge_i32_e32 vcc, v1, v4
	v_mov_b32_e32 v2, s13
	s_or_b64 s[4:5], vcc, s[4:5]
	global_store_dword v[5:6], v2, off
	s_andn2_b64 exec, exec, s[4:5]
	s_cbranch_execnz .LBB1_32
	s_branch .LBB1_14
	.section	.rodata,"a",@progbits
	.p2align	6, 0x0
	.amdhsa_kernel _ZN9rocsparseL14csr2coo_kernelILj256ELj4EiiEEvT2_PKT1_S4_PS1_21rocsparse_index_base_
		.amdhsa_group_segment_fixed_size 260
		.amdhsa_private_segment_fixed_size 0
		.amdhsa_kernarg_size 36
		.amdhsa_user_sgpr_count 6
		.amdhsa_user_sgpr_private_segment_buffer 1
		.amdhsa_user_sgpr_dispatch_ptr 0
		.amdhsa_user_sgpr_queue_ptr 0
		.amdhsa_user_sgpr_kernarg_segment_ptr 1
		.amdhsa_user_sgpr_dispatch_id 0
		.amdhsa_user_sgpr_flat_scratch_init 0
		.amdhsa_user_sgpr_private_segment_size 0
		.amdhsa_uses_dynamic_stack 0
		.amdhsa_system_sgpr_private_segment_wavefront_offset 0
		.amdhsa_system_sgpr_workgroup_id_x 1
		.amdhsa_system_sgpr_workgroup_id_y 0
		.amdhsa_system_sgpr_workgroup_id_z 0
		.amdhsa_system_sgpr_workgroup_info 0
		.amdhsa_system_vgpr_workitem_id 0
		.amdhsa_next_free_vgpr 9
		.amdhsa_next_free_sgpr 20
		.amdhsa_reserve_vcc 1
		.amdhsa_reserve_flat_scratch 0
		.amdhsa_float_round_mode_32 0
		.amdhsa_float_round_mode_16_64 0
		.amdhsa_float_denorm_mode_32 3
		.amdhsa_float_denorm_mode_16_64 3
		.amdhsa_dx10_clamp 1
		.amdhsa_ieee_mode 1
		.amdhsa_fp16_overflow 0
		.amdhsa_exception_fp_ieee_invalid_op 0
		.amdhsa_exception_fp_denorm_src 0
		.amdhsa_exception_fp_ieee_div_zero 0
		.amdhsa_exception_fp_ieee_overflow 0
		.amdhsa_exception_fp_ieee_underflow 0
		.amdhsa_exception_fp_ieee_inexact 0
		.amdhsa_exception_int_div_zero 0
	.end_amdhsa_kernel
	.section	.text._ZN9rocsparseL14csr2coo_kernelILj256ELj4EiiEEvT2_PKT1_S4_PS1_21rocsparse_index_base_,"axG",@progbits,_ZN9rocsparseL14csr2coo_kernelILj256ELj4EiiEEvT2_PKT1_S4_PS1_21rocsparse_index_base_,comdat
.Lfunc_end1:
	.size	_ZN9rocsparseL14csr2coo_kernelILj256ELj4EiiEEvT2_PKT1_S4_PS1_21rocsparse_index_base_, .Lfunc_end1-_ZN9rocsparseL14csr2coo_kernelILj256ELj4EiiEEvT2_PKT1_S4_PS1_21rocsparse_index_base_
                                        ; -- End function
	.set _ZN9rocsparseL14csr2coo_kernelILj256ELj4EiiEEvT2_PKT1_S4_PS1_21rocsparse_index_base_.num_vgpr, 9
	.set _ZN9rocsparseL14csr2coo_kernelILj256ELj4EiiEEvT2_PKT1_S4_PS1_21rocsparse_index_base_.num_agpr, 0
	.set _ZN9rocsparseL14csr2coo_kernelILj256ELj4EiiEEvT2_PKT1_S4_PS1_21rocsparse_index_base_.numbered_sgpr, 20
	.set _ZN9rocsparseL14csr2coo_kernelILj256ELj4EiiEEvT2_PKT1_S4_PS1_21rocsparse_index_base_.num_named_barrier, 0
	.set _ZN9rocsparseL14csr2coo_kernelILj256ELj4EiiEEvT2_PKT1_S4_PS1_21rocsparse_index_base_.private_seg_size, 0
	.set _ZN9rocsparseL14csr2coo_kernelILj256ELj4EiiEEvT2_PKT1_S4_PS1_21rocsparse_index_base_.uses_vcc, 1
	.set _ZN9rocsparseL14csr2coo_kernelILj256ELj4EiiEEvT2_PKT1_S4_PS1_21rocsparse_index_base_.uses_flat_scratch, 0
	.set _ZN9rocsparseL14csr2coo_kernelILj256ELj4EiiEEvT2_PKT1_S4_PS1_21rocsparse_index_base_.has_dyn_sized_stack, 0
	.set _ZN9rocsparseL14csr2coo_kernelILj256ELj4EiiEEvT2_PKT1_S4_PS1_21rocsparse_index_base_.has_recursion, 0
	.set _ZN9rocsparseL14csr2coo_kernelILj256ELj4EiiEEvT2_PKT1_S4_PS1_21rocsparse_index_base_.has_indirect_call, 0
	.section	.AMDGPU.csdata,"",@progbits
; Kernel info:
; codeLenInByte = 920
; TotalNumSgprs: 24
; NumVgprs: 9
; ScratchSize: 0
; MemoryBound: 0
; FloatMode: 240
; IeeeMode: 1
; LDSByteSize: 260 bytes/workgroup (compile time only)
; SGPRBlocks: 2
; VGPRBlocks: 2
; NumSGPRsForWavesPerEU: 24
; NumVGPRsForWavesPerEU: 9
; Occupancy: 10
; WaveLimiterHint : 0
; COMPUTE_PGM_RSRC2:SCRATCH_EN: 0
; COMPUTE_PGM_RSRC2:USER_SGPR: 6
; COMPUTE_PGM_RSRC2:TRAP_HANDLER: 0
; COMPUTE_PGM_RSRC2:TGID_X_EN: 1
; COMPUTE_PGM_RSRC2:TGID_Y_EN: 0
; COMPUTE_PGM_RSRC2:TGID_Z_EN: 0
; COMPUTE_PGM_RSRC2:TIDIG_COMP_CNT: 0
	.section	.text._ZN9rocsparseL14csr2coo_kernelILj256ELj8EiiEEvT2_PKT1_S4_PS1_21rocsparse_index_base_,"axG",@progbits,_ZN9rocsparseL14csr2coo_kernelILj256ELj8EiiEEvT2_PKT1_S4_PS1_21rocsparse_index_base_,comdat
	.globl	_ZN9rocsparseL14csr2coo_kernelILj256ELj8EiiEEvT2_PKT1_S4_PS1_21rocsparse_index_base_ ; -- Begin function _ZN9rocsparseL14csr2coo_kernelILj256ELj8EiiEEvT2_PKT1_S4_PS1_21rocsparse_index_base_
	.p2align	8
	.type	_ZN9rocsparseL14csr2coo_kernelILj256ELj8EiiEEvT2_PKT1_S4_PS1_21rocsparse_index_base_,@function
_ZN9rocsparseL14csr2coo_kernelILj256ELj8EiiEEvT2_PKT1_S4_PS1_21rocsparse_index_base_: ; @_ZN9rocsparseL14csr2coo_kernelILj256ELj8EiiEEvT2_PKT1_S4_PS1_21rocsparse_index_base_
; %bb.0:
	s_load_dword s14, s[4:5], 0x0
	s_load_dwordx4 s[8:11], s[4:5], 0x8
	s_load_dwordx2 s[2:3], s[4:5], 0x18
	s_load_dword s15, s[4:5], 0x20
	v_lshrrev_b32_e32 v4, 3, v0
	v_mov_b32_e32 v1, 1
	v_mov_b32_e32 v5, 0
	s_lshl_b32 s16, s6, 5
	ds_write_b32 v5, v1 offset:128
	v_or_b32_e32 v1, s16, v4
	s_waitcnt lgkmcnt(0)
	v_cmp_gt_i32_e32 vcc, s14, v1
	v_ashrrev_i32_e32 v2, 31, v1
	v_mov_b32_e32 v3, 0
	s_barrier
	s_and_saveexec_b64 s[4:5], vcc
	s_cbranch_execz .LBB2_2
; %bb.1:
	v_lshlrev_b64 v[6:7], 2, v[1:2]
	v_mov_b32_e32 v3, s9
	v_add_co_u32_e64 v6, s[0:1], s8, v6
	v_addc_co_u32_e64 v7, s[0:1], v3, v7, s[0:1]
	global_load_dword v3, v[6:7], off
	s_waitcnt vmcnt(0)
	v_subrev_u32_e32 v3, s15, v3
.LBB2_2:
	s_or_b64 exec, exec, s[4:5]
	s_and_saveexec_b64 s[0:1], vcc
	s_cbranch_execz .LBB2_4
; %bb.3:
	v_lshlrev_b64 v[5:6], 2, v[1:2]
	v_mov_b32_e32 v2, s11
	v_add_co_u32_e32 v5, vcc, s10, v5
	v_addc_co_u32_e32 v6, vcc, v2, v6, vcc
	global_load_dword v2, v[5:6], off
	s_waitcnt vmcnt(0)
	v_subrev_u32_e32 v5, s15, v2
.LBB2_4:
	s_or_b64 exec, exec, s[0:1]
	v_sub_u32_e32 v2, v5, v3
	s_movk_i32 s0, 0x41
	v_cmp_gt_u32_e32 vcc, s0, v2
	v_cmp_lt_u32_e64 s[0:1], 64, v2
	s_and_saveexec_b64 s[4:5], s[0:1]
	s_xor_b64 s[0:1], exec, s[4:5]
; %bb.5:
	v_mov_b32_e32 v1, 0
	ds_write_b32 v1, v1 offset:128
                                        ; implicit-def: $vgpr3
                                        ; implicit-def: $vgpr5
                                        ; implicit-def: $vgpr1
; %bb.6:
	s_andn2_saveexec_b64 s[4:5], s[0:1]
	s_cbranch_execz .LBB2_11
; %bb.7:
	v_and_b32_e32 v2, 7, v0
	v_add_u32_e32 v2, v3, v2
	v_cmp_lt_i32_e64 s[0:1], v2, v5
	s_and_saveexec_b64 s[6:7], s[0:1]
	s_cbranch_execz .LBB2_10
; %bb.8:
	v_add_u32_e32 v1, s15, v1
	s_mov_b64 s[12:13], 0
	v_mov_b32_e32 v6, s3
.LBB2_9:                                ; =>This Inner Loop Header: Depth=1
	v_ashrrev_i32_e32 v3, 31, v2
	v_lshlrev_b64 v[7:8], 2, v[2:3]
	v_add_u32_e32 v2, 8, v2
	v_add_co_u32_e64 v7, s[0:1], s2, v7
	v_addc_co_u32_e64 v8, s[0:1], v6, v8, s[0:1]
	v_cmp_ge_i32_e64 s[0:1], v2, v5
	s_or_b64 s[12:13], s[0:1], s[12:13]
	global_store_dword v[7:8], v1, off
	s_andn2_b64 exec, exec, s[12:13]
	s_cbranch_execnz .LBB2_9
.LBB2_10:
	s_or_b64 exec, exec, s[6:7]
.LBB2_11:
	s_or_b64 exec, exec, s[4:5]
	v_cndmask_b32_e64 v1, 0, 1, vcc
	v_lshlrev_b32_e32 v2, 2, v4
	v_mov_b32_e32 v3, 0
	ds_write_b32 v2, v1
	s_waitcnt vmcnt(0) lgkmcnt(0)
	s_barrier
	ds_read_b32 v1, v3 offset:128
	s_mov_b32 s6, 0
	s_waitcnt lgkmcnt(0)
	v_cmp_ne_u32_e32 vcc, 0, v1
	s_cbranch_vccz .LBB2_13
.LBB2_12:
	s_endpgm
.LBB2_13:
	s_or_b32 s7, s16, 1
	s_ashr_i32 s12, s16, 31
	s_branch .LBB2_16
.LBB2_14:                               ;   in Loop: Header=BB2_16 Depth=1
	s_or_b64 exec, exec, s[0:1]
.LBB2_15:                               ;   in Loop: Header=BB2_16 Depth=1
	s_add_i32 s6, s6, 2
	s_cmp_lg_u32 s6, 32
	s_cbranch_scc0 .LBB2_12
.LBB2_16:                               ; =>This Loop Header: Depth=1
                                        ;     Child Loop BB2_23 Depth 2
                                        ;     Child Loop BB2_32 Depth 2
	s_lshl_b32 s13, s6, 2
	v_mov_b32_e32 v1, s13
	ds_read_b32 v1, v1
	s_waitcnt lgkmcnt(0)
	v_cmp_ne_u32_e32 vcc, 0, v1
	s_cbranch_vccnz .LBB2_25
; %bb.17:                               ;   in Loop: Header=BB2_16 Depth=1
	s_or_b32 s0, s6, s16
	s_cmp_lt_i32 s0, s14
	s_cselect_b64 s[4:5], -1, 0
	s_cmp_ge_i32 s0, s14
	v_mov_b32_e32 v4, 0
	v_mov_b32_e32 v1, 0
	s_cbranch_scc0 .LBB2_20
; %bb.18:                               ;   in Loop: Header=BB2_16 Depth=1
	s_andn2_b64 vcc, exec, s[4:5]
	s_cbranch_vccz .LBB2_21
.LBB2_19:                               ;   in Loop: Header=BB2_16 Depth=1
	v_add_u32_e32 v1, v1, v0
	v_cmp_lt_i32_e32 vcc, v1, v4
	s_and_saveexec_b64 s[4:5], vcc
	s_cbranch_execnz .LBB2_22
	s_branch .LBB2_24
.LBB2_20:                               ;   in Loop: Header=BB2_16 Depth=1
	s_ashr_i32 s1, s0, 31
	s_lshl_b64 s[18:19], s[0:1], 2
	s_add_u32 s18, s8, s18
	s_addc_u32 s19, s9, s19
	global_load_dword v1, v3, s[18:19]
	s_waitcnt vmcnt(0)
	v_subrev_u32_e32 v1, s15, v1
	s_andn2_b64 vcc, exec, s[4:5]
	s_cbranch_vccnz .LBB2_19
.LBB2_21:                               ;   in Loop: Header=BB2_16 Depth=1
	s_ashr_i32 s1, s0, 31
	s_lshl_b64 s[4:5], s[0:1], 2
	s_add_u32 s4, s10, s4
	s_addc_u32 s5, s11, s5
	global_load_dword v2, v3, s[4:5]
	s_waitcnt vmcnt(0)
	v_subrev_u32_e32 v4, s15, v2
	v_add_u32_e32 v1, v1, v0
	v_cmp_lt_i32_e32 vcc, v1, v4
	s_and_saveexec_b64 s[4:5], vcc
	s_cbranch_execz .LBB2_24
.LBB2_22:                               ;   in Loop: Header=BB2_16 Depth=1
	s_add_i32 s17, s0, s15
	s_mov_b64 s[0:1], 0
.LBB2_23:                               ;   Parent Loop BB2_16 Depth=1
                                        ; =>  This Inner Loop Header: Depth=2
	v_ashrrev_i32_e32 v2, 31, v1
	v_lshlrev_b64 v[5:6], 2, v[1:2]
	v_mov_b32_e32 v2, s3
	v_add_co_u32_e32 v5, vcc, s2, v5
	v_addc_co_u32_e32 v6, vcc, v2, v6, vcc
	v_add_u32_e32 v1, 0x100, v1
	v_cmp_ge_i32_e32 vcc, v1, v4
	v_mov_b32_e32 v2, s17
	s_or_b64 s[0:1], vcc, s[0:1]
	global_store_dword v[5:6], v2, off
	s_andn2_b64 exec, exec, s[0:1]
	s_cbranch_execnz .LBB2_23
.LBB2_24:                               ;   in Loop: Header=BB2_16 Depth=1
	s_or_b64 exec, exec, s[4:5]
.LBB2_25:                               ;   in Loop: Header=BB2_16 Depth=1
	v_mov_b32_e32 v1, s13
	ds_read_b32 v1, v1 offset:4
	s_waitcnt lgkmcnt(0)
	v_cmp_ne_u32_e32 vcc, 0, v1
	s_cbranch_vccnz .LBB2_15
; %bb.26:                               ;   in Loop: Header=BB2_16 Depth=1
	s_or_b32 s4, s6, s7
	s_cmp_lt_i32 s4, s14
	s_cselect_b64 s[0:1], -1, 0
	s_cmp_ge_i32 s4, s14
	v_mov_b32_e32 v4, 0
	v_mov_b32_e32 v1, 0
	s_cbranch_scc0 .LBB2_29
; %bb.27:                               ;   in Loop: Header=BB2_16 Depth=1
	s_andn2_b64 vcc, exec, s[0:1]
	s_cbranch_vccz .LBB2_30
.LBB2_28:                               ;   in Loop: Header=BB2_16 Depth=1
	v_add_u32_e32 v1, v1, v0
	v_cmp_lt_i32_e32 vcc, v1, v4
	s_and_saveexec_b64 s[0:1], vcc
	s_cbranch_execz .LBB2_14
	s_branch .LBB2_31
.LBB2_29:                               ;   in Loop: Header=BB2_16 Depth=1
	s_ashr_i32 s5, s6, 31
	s_add_u32 s18, s6, s16
	s_addc_u32 s19, s5, s12
	s_lshl_b64 s[18:19], s[18:19], 2
	s_add_u32 s18, s8, s18
	s_addc_u32 s19, s9, s19
	global_load_dword v1, v3, s[18:19] offset:4
	s_waitcnt vmcnt(0)
	v_subrev_u32_e32 v1, s15, v1
	s_andn2_b64 vcc, exec, s[0:1]
	s_cbranch_vccnz .LBB2_28
.LBB2_30:                               ;   in Loop: Header=BB2_16 Depth=1
	s_ashr_i32 s1, s6, 31
	s_add_u32 s0, s6, s16
	s_addc_u32 s1, s1, s12
	s_lshl_b64 s[0:1], s[0:1], 2
	s_add_u32 s0, s10, s0
	s_addc_u32 s1, s11, s1
	global_load_dword v2, v3, s[0:1] offset:4
	s_waitcnt vmcnt(0)
	v_subrev_u32_e32 v4, s15, v2
	v_add_u32_e32 v1, v1, v0
	v_cmp_lt_i32_e32 vcc, v1, v4
	s_and_saveexec_b64 s[0:1], vcc
	s_cbranch_execz .LBB2_14
.LBB2_31:                               ;   in Loop: Header=BB2_16 Depth=1
	s_add_i32 s13, s4, s15
	s_mov_b64 s[4:5], 0
.LBB2_32:                               ;   Parent Loop BB2_16 Depth=1
                                        ; =>  This Inner Loop Header: Depth=2
	v_ashrrev_i32_e32 v2, 31, v1
	v_lshlrev_b64 v[5:6], 2, v[1:2]
	v_mov_b32_e32 v2, s3
	v_add_co_u32_e32 v5, vcc, s2, v5
	v_addc_co_u32_e32 v6, vcc, v2, v6, vcc
	v_add_u32_e32 v1, 0x100, v1
	v_cmp_ge_i32_e32 vcc, v1, v4
	v_mov_b32_e32 v2, s13
	s_or_b64 s[4:5], vcc, s[4:5]
	global_store_dword v[5:6], v2, off
	s_andn2_b64 exec, exec, s[4:5]
	s_cbranch_execnz .LBB2_32
	s_branch .LBB2_14
	.section	.rodata,"a",@progbits
	.p2align	6, 0x0
	.amdhsa_kernel _ZN9rocsparseL14csr2coo_kernelILj256ELj8EiiEEvT2_PKT1_S4_PS1_21rocsparse_index_base_
		.amdhsa_group_segment_fixed_size 132
		.amdhsa_private_segment_fixed_size 0
		.amdhsa_kernarg_size 36
		.amdhsa_user_sgpr_count 6
		.amdhsa_user_sgpr_private_segment_buffer 1
		.amdhsa_user_sgpr_dispatch_ptr 0
		.amdhsa_user_sgpr_queue_ptr 0
		.amdhsa_user_sgpr_kernarg_segment_ptr 1
		.amdhsa_user_sgpr_dispatch_id 0
		.amdhsa_user_sgpr_flat_scratch_init 0
		.amdhsa_user_sgpr_private_segment_size 0
		.amdhsa_uses_dynamic_stack 0
		.amdhsa_system_sgpr_private_segment_wavefront_offset 0
		.amdhsa_system_sgpr_workgroup_id_x 1
		.amdhsa_system_sgpr_workgroup_id_y 0
		.amdhsa_system_sgpr_workgroup_id_z 0
		.amdhsa_system_sgpr_workgroup_info 0
		.amdhsa_system_vgpr_workitem_id 0
		.amdhsa_next_free_vgpr 9
		.amdhsa_next_free_sgpr 20
		.amdhsa_reserve_vcc 1
		.amdhsa_reserve_flat_scratch 0
		.amdhsa_float_round_mode_32 0
		.amdhsa_float_round_mode_16_64 0
		.amdhsa_float_denorm_mode_32 3
		.amdhsa_float_denorm_mode_16_64 3
		.amdhsa_dx10_clamp 1
		.amdhsa_ieee_mode 1
		.amdhsa_fp16_overflow 0
		.amdhsa_exception_fp_ieee_invalid_op 0
		.amdhsa_exception_fp_denorm_src 0
		.amdhsa_exception_fp_ieee_div_zero 0
		.amdhsa_exception_fp_ieee_overflow 0
		.amdhsa_exception_fp_ieee_underflow 0
		.amdhsa_exception_fp_ieee_inexact 0
		.amdhsa_exception_int_div_zero 0
	.end_amdhsa_kernel
	.section	.text._ZN9rocsparseL14csr2coo_kernelILj256ELj8EiiEEvT2_PKT1_S4_PS1_21rocsparse_index_base_,"axG",@progbits,_ZN9rocsparseL14csr2coo_kernelILj256ELj8EiiEEvT2_PKT1_S4_PS1_21rocsparse_index_base_,comdat
.Lfunc_end2:
	.size	_ZN9rocsparseL14csr2coo_kernelILj256ELj8EiiEEvT2_PKT1_S4_PS1_21rocsparse_index_base_, .Lfunc_end2-_ZN9rocsparseL14csr2coo_kernelILj256ELj8EiiEEvT2_PKT1_S4_PS1_21rocsparse_index_base_
                                        ; -- End function
	.set _ZN9rocsparseL14csr2coo_kernelILj256ELj8EiiEEvT2_PKT1_S4_PS1_21rocsparse_index_base_.num_vgpr, 9
	.set _ZN9rocsparseL14csr2coo_kernelILj256ELj8EiiEEvT2_PKT1_S4_PS1_21rocsparse_index_base_.num_agpr, 0
	.set _ZN9rocsparseL14csr2coo_kernelILj256ELj8EiiEEvT2_PKT1_S4_PS1_21rocsparse_index_base_.numbered_sgpr, 20
	.set _ZN9rocsparseL14csr2coo_kernelILj256ELj8EiiEEvT2_PKT1_S4_PS1_21rocsparse_index_base_.num_named_barrier, 0
	.set _ZN9rocsparseL14csr2coo_kernelILj256ELj8EiiEEvT2_PKT1_S4_PS1_21rocsparse_index_base_.private_seg_size, 0
	.set _ZN9rocsparseL14csr2coo_kernelILj256ELj8EiiEEvT2_PKT1_S4_PS1_21rocsparse_index_base_.uses_vcc, 1
	.set _ZN9rocsparseL14csr2coo_kernelILj256ELj8EiiEEvT2_PKT1_S4_PS1_21rocsparse_index_base_.uses_flat_scratch, 0
	.set _ZN9rocsparseL14csr2coo_kernelILj256ELj8EiiEEvT2_PKT1_S4_PS1_21rocsparse_index_base_.has_dyn_sized_stack, 0
	.set _ZN9rocsparseL14csr2coo_kernelILj256ELj8EiiEEvT2_PKT1_S4_PS1_21rocsparse_index_base_.has_recursion, 0
	.set _ZN9rocsparseL14csr2coo_kernelILj256ELj8EiiEEvT2_PKT1_S4_PS1_21rocsparse_index_base_.has_indirect_call, 0
	.section	.AMDGPU.csdata,"",@progbits
; Kernel info:
; codeLenInByte = 924
; TotalNumSgprs: 24
; NumVgprs: 9
; ScratchSize: 0
; MemoryBound: 0
; FloatMode: 240
; IeeeMode: 1
; LDSByteSize: 132 bytes/workgroup (compile time only)
; SGPRBlocks: 2
; VGPRBlocks: 2
; NumSGPRsForWavesPerEU: 24
; NumVGPRsForWavesPerEU: 9
; Occupancy: 10
; WaveLimiterHint : 0
; COMPUTE_PGM_RSRC2:SCRATCH_EN: 0
; COMPUTE_PGM_RSRC2:USER_SGPR: 6
; COMPUTE_PGM_RSRC2:TRAP_HANDLER: 0
; COMPUTE_PGM_RSRC2:TGID_X_EN: 1
; COMPUTE_PGM_RSRC2:TGID_Y_EN: 0
; COMPUTE_PGM_RSRC2:TGID_Z_EN: 0
; COMPUTE_PGM_RSRC2:TIDIG_COMP_CNT: 0
	.section	.text._ZN9rocsparseL14csr2coo_kernelILj256ELj16EiiEEvT2_PKT1_S4_PS1_21rocsparse_index_base_,"axG",@progbits,_ZN9rocsparseL14csr2coo_kernelILj256ELj16EiiEEvT2_PKT1_S4_PS1_21rocsparse_index_base_,comdat
	.globl	_ZN9rocsparseL14csr2coo_kernelILj256ELj16EiiEEvT2_PKT1_S4_PS1_21rocsparse_index_base_ ; -- Begin function _ZN9rocsparseL14csr2coo_kernelILj256ELj16EiiEEvT2_PKT1_S4_PS1_21rocsparse_index_base_
	.p2align	8
	.type	_ZN9rocsparseL14csr2coo_kernelILj256ELj16EiiEEvT2_PKT1_S4_PS1_21rocsparse_index_base_,@function
_ZN9rocsparseL14csr2coo_kernelILj256ELj16EiiEEvT2_PKT1_S4_PS1_21rocsparse_index_base_: ; @_ZN9rocsparseL14csr2coo_kernelILj256ELj16EiiEEvT2_PKT1_S4_PS1_21rocsparse_index_base_
; %bb.0:
	s_load_dword s17, s[4:5], 0x0
	s_load_dwordx4 s[8:11], s[4:5], 0x8
	s_load_dwordx2 s[2:3], s[4:5], 0x18
	s_load_dword s16, s[4:5], 0x20
	v_lshrrev_b32_e32 v4, 4, v0
	v_mov_b32_e32 v1, 1
	v_mov_b32_e32 v5, 0
	s_lshl_b32 s4, s6, 4
	ds_write_b32 v5, v1 offset:64
	v_or_b32_e32 v1, s4, v4
	s_waitcnt lgkmcnt(0)
	v_cmp_gt_i32_e32 vcc, s17, v1
	v_ashrrev_i32_e32 v2, 31, v1
	v_mov_b32_e32 v3, 0
	s_barrier
	s_and_saveexec_b64 s[6:7], vcc
	s_cbranch_execz .LBB3_2
; %bb.1:
	v_lshlrev_b64 v[6:7], 2, v[1:2]
	v_mov_b32_e32 v3, s9
	v_add_co_u32_e64 v6, s[0:1], s8, v6
	v_addc_co_u32_e64 v7, s[0:1], v3, v7, s[0:1]
	global_load_dword v3, v[6:7], off
	s_waitcnt vmcnt(0)
	v_subrev_u32_e32 v3, s16, v3
.LBB3_2:
	s_or_b64 exec, exec, s[6:7]
	s_and_saveexec_b64 s[0:1], vcc
	s_cbranch_execz .LBB3_4
; %bb.3:
	v_lshlrev_b64 v[5:6], 2, v[1:2]
	v_mov_b32_e32 v2, s11
	v_add_co_u32_e32 v5, vcc, s10, v5
	v_addc_co_u32_e32 v6, vcc, v2, v6, vcc
	global_load_dword v2, v[5:6], off
	s_waitcnt vmcnt(0)
	v_subrev_u32_e32 v5, s16, v2
.LBB3_4:
	s_or_b64 exec, exec, s[0:1]
	v_sub_u32_e32 v2, v5, v3
	s_movk_i32 s0, 0x81
	v_cmp_gt_u32_e32 vcc, s0, v2
	s_movk_i32 s0, 0x80
	v_cmp_lt_u32_e64 s[0:1], s0, v2
	s_and_saveexec_b64 s[6:7], s[0:1]
	s_xor_b64 s[0:1], exec, s[6:7]
; %bb.5:
	v_mov_b32_e32 v1, 0
	ds_write_b32 v1, v1 offset:64
                                        ; implicit-def: $vgpr3
                                        ; implicit-def: $vgpr5
                                        ; implicit-def: $vgpr1
; %bb.6:
	s_andn2_saveexec_b64 s[6:7], s[0:1]
	s_cbranch_execz .LBB3_11
; %bb.7:
	v_and_b32_e32 v2, 15, v0
	v_add_u32_e32 v2, v3, v2
	v_cmp_lt_i32_e64 s[0:1], v2, v5
	s_and_saveexec_b64 s[12:13], s[0:1]
	s_cbranch_execz .LBB3_10
; %bb.8:
	v_add_u32_e32 v1, s16, v1
	s_mov_b64 s[14:15], 0
	v_mov_b32_e32 v6, s3
.LBB3_9:                                ; =>This Inner Loop Header: Depth=1
	v_ashrrev_i32_e32 v3, 31, v2
	v_lshlrev_b64 v[7:8], 2, v[2:3]
	v_add_u32_e32 v2, 16, v2
	v_add_co_u32_e64 v7, s[0:1], s2, v7
	v_addc_co_u32_e64 v8, s[0:1], v6, v8, s[0:1]
	v_cmp_ge_i32_e64 s[0:1], v2, v5
	s_or_b64 s[14:15], s[0:1], s[14:15]
	global_store_dword v[7:8], v1, off
	s_andn2_b64 exec, exec, s[14:15]
	s_cbranch_execnz .LBB3_9
.LBB3_10:
	s_or_b64 exec, exec, s[12:13]
.LBB3_11:
	s_or_b64 exec, exec, s[6:7]
	v_cndmask_b32_e64 v1, 0, 1, vcc
	v_lshlrev_b32_e32 v2, 2, v4
	ds_write_b32 v2, v1
	v_mov_b32_e32 v1, 0
	s_waitcnt vmcnt(0) lgkmcnt(0)
	s_barrier
	ds_read_b32 v2, v1 offset:64
	s_waitcnt lgkmcnt(0)
	v_cmp_ne_u32_e32 vcc, 0, v2
	s_cbranch_vccnz .LBB3_155
; %bb.12:
	ds_read_b32 v1, v1
	s_waitcnt lgkmcnt(0)
	v_cmp_ne_u32_e32 vcc, 0, v1
	s_cbranch_vccnz .LBB3_21
; %bb.13:
	s_cmp_lt_i32 s4, s17
	s_cselect_b64 s[0:1], -1, 0
	s_cmp_ge_i32 s4, s17
	v_mov_b32_e32 v3, 0
	v_mov_b32_e32 v1, 0
	s_cbranch_scc0 .LBB3_16
; %bb.14:
	s_andn2_b64 vcc, exec, s[0:1]
	s_cbranch_vccz .LBB3_17
.LBB3_15:
	v_add_u32_e32 v1, v1, v0
	v_cmp_lt_i32_e32 vcc, v1, v3
	s_and_saveexec_b64 s[0:1], vcc
	s_cbranch_execnz .LBB3_18
	s_branch .LBB3_20
.LBB3_16:
	s_ashr_i32 s5, s4, 31
	s_lshl_b64 s[6:7], s[4:5], 2
	s_add_u32 s6, s8, s6
	s_addc_u32 s7, s9, s7
	v_mov_b32_e32 v1, 0
	global_load_dword v1, v1, s[6:7]
	s_waitcnt vmcnt(0)
	v_subrev_u32_e32 v1, s16, v1
	s_andn2_b64 vcc, exec, s[0:1]
	s_cbranch_vccnz .LBB3_15
.LBB3_17:
	s_ashr_i32 s5, s4, 31
	s_lshl_b64 s[0:1], s[4:5], 2
	s_add_u32 s0, s10, s0
	s_addc_u32 s1, s11, s1
	v_mov_b32_e32 v2, 0
	global_load_dword v2, v2, s[0:1]
	s_waitcnt vmcnt(0)
	v_subrev_u32_e32 v3, s16, v2
	v_add_u32_e32 v1, v1, v0
	v_cmp_lt_i32_e32 vcc, v1, v3
	s_and_saveexec_b64 s[0:1], vcc
	s_cbranch_execz .LBB3_20
.LBB3_18:
	s_add_i32 s5, s4, s16
	s_mov_b64 s[6:7], 0
	v_mov_b32_e32 v4, s3
	v_mov_b32_e32 v5, s5
.LBB3_19:                               ; =>This Inner Loop Header: Depth=1
	v_ashrrev_i32_e32 v2, 31, v1
	v_lshlrev_b64 v[6:7], 2, v[1:2]
	v_add_u32_e32 v1, 0x100, v1
	v_add_co_u32_e32 v6, vcc, s2, v6
	v_addc_co_u32_e32 v7, vcc, v4, v7, vcc
	v_cmp_ge_i32_e32 vcc, v1, v3
	s_or_b64 s[6:7], vcc, s[6:7]
	global_store_dword v[6:7], v5, off
	s_andn2_b64 exec, exec, s[6:7]
	s_cbranch_execnz .LBB3_19
.LBB3_20:
	s_or_b64 exec, exec, s[0:1]
.LBB3_21:
	v_mov_b32_e32 v3, 0
	ds_read_b32 v1, v3 offset:4
	s_waitcnt lgkmcnt(0)
	v_cmp_ne_u32_e32 vcc, 0, v1
	s_cbranch_vccz .LBB3_23
; %bb.22:
	ds_read_b32 v1, v3 offset:8
	s_waitcnt lgkmcnt(0)
	v_cmp_ne_u32_e32 vcc, 0, v1
	s_cbranch_vccnz .LBB3_39
	s_branch .LBB3_31
.LBB3_23:
	s_or_b32 s6, s4, 1
	s_cmp_lt_i32 s6, s17
	s_cselect_b64 s[0:1], -1, 0
	s_cmp_ge_i32 s6, s17
	v_mov_b32_e32 v1, 0
	s_cbranch_scc0 .LBB3_26
; %bb.24:
	s_andn2_b64 vcc, exec, s[0:1]
	v_mov_b32_e32 v4, 0
	s_cbranch_vccz .LBB3_27
.LBB3_25:
	v_add_u32_e32 v1, v1, v0
	v_cmp_lt_i32_e32 vcc, v1, v4
	s_and_saveexec_b64 s[0:1], vcc
	s_cbranch_execnz .LBB3_28
	s_branch .LBB3_30
.LBB3_26:
	s_ashr_i32 s5, s4, 31
	s_lshl_b64 s[12:13], s[4:5], 2
	s_add_u32 s12, s8, s12
	s_addc_u32 s13, s9, s13
	v_mov_b32_e32 v1, 0
	global_load_dword v1, v1, s[12:13] offset:4
	s_waitcnt vmcnt(0)
	v_subrev_u32_e32 v1, s16, v1
	s_andn2_b64 vcc, exec, s[0:1]
	v_mov_b32_e32 v4, 0
	s_cbranch_vccnz .LBB3_25
.LBB3_27:
	s_ashr_i32 s5, s4, 31
	s_lshl_b64 s[0:1], s[4:5], 2
	s_add_u32 s0, s10, s0
	s_addc_u32 s1, s11, s1
	v_mov_b32_e32 v2, 0
	global_load_dword v2, v2, s[0:1] offset:4
	s_waitcnt vmcnt(0)
	v_subrev_u32_e32 v4, s16, v2
	v_add_u32_e32 v1, v1, v0
	v_cmp_lt_i32_e32 vcc, v1, v4
	s_and_saveexec_b64 s[0:1], vcc
	s_cbranch_execz .LBB3_30
.LBB3_28:
	s_add_i32 s5, s6, s16
	s_mov_b64 s[6:7], 0
	v_mov_b32_e32 v5, s3
	v_mov_b32_e32 v6, s5
.LBB3_29:                               ; =>This Inner Loop Header: Depth=1
	v_ashrrev_i32_e32 v2, 31, v1
	v_lshlrev_b64 v[7:8], 2, v[1:2]
	v_add_u32_e32 v1, 0x100, v1
	v_add_co_u32_e32 v7, vcc, s2, v7
	v_addc_co_u32_e32 v8, vcc, v5, v8, vcc
	v_cmp_ge_i32_e32 vcc, v1, v4
	s_or_b64 s[6:7], vcc, s[6:7]
	global_store_dword v[7:8], v6, off
	s_andn2_b64 exec, exec, s[6:7]
	s_cbranch_execnz .LBB3_29
.LBB3_30:
	s_or_b64 exec, exec, s[0:1]
	ds_read_b32 v1, v3 offset:8
	s_waitcnt lgkmcnt(0)
	v_cmp_ne_u32_e32 vcc, 0, v1
	s_cbranch_vccnz .LBB3_39
.LBB3_31:
	s_or_b32 s6, s4, 2
	s_cmp_lt_i32 s6, s17
	s_cselect_b64 s[0:1], -1, 0
	s_cmp_ge_i32 s6, s17
	v_mov_b32_e32 v3, 0
	v_mov_b32_e32 v1, 0
	s_cbranch_scc0 .LBB3_34
; %bb.32:
	s_andn2_b64 vcc, exec, s[0:1]
	s_cbranch_vccz .LBB3_35
.LBB3_33:
	v_add_u32_e32 v1, v1, v0
	v_cmp_lt_i32_e32 vcc, v1, v3
	s_and_saveexec_b64 s[0:1], vcc
	s_cbranch_execnz .LBB3_36
	s_branch .LBB3_38
.LBB3_34:
	s_ashr_i32 s5, s4, 31
	s_lshl_b64 s[12:13], s[4:5], 2
	s_add_u32 s12, s8, s12
	s_addc_u32 s13, s9, s13
	v_mov_b32_e32 v1, 0
	global_load_dword v1, v1, s[12:13] offset:8
	s_waitcnt vmcnt(0)
	v_subrev_u32_e32 v1, s16, v1
	s_andn2_b64 vcc, exec, s[0:1]
	s_cbranch_vccnz .LBB3_33
.LBB3_35:
	s_ashr_i32 s5, s4, 31
	s_lshl_b64 s[0:1], s[4:5], 2
	s_add_u32 s0, s10, s0
	s_addc_u32 s1, s11, s1
	v_mov_b32_e32 v2, 0
	global_load_dword v2, v2, s[0:1] offset:8
	s_waitcnt vmcnt(0)
	v_subrev_u32_e32 v3, s16, v2
	v_add_u32_e32 v1, v1, v0
	v_cmp_lt_i32_e32 vcc, v1, v3
	s_and_saveexec_b64 s[0:1], vcc
	s_cbranch_execz .LBB3_38
.LBB3_36:
	s_add_i32 s5, s6, s16
	s_mov_b64 s[6:7], 0
	v_mov_b32_e32 v4, s3
	v_mov_b32_e32 v5, s5
.LBB3_37:                               ; =>This Inner Loop Header: Depth=1
	v_ashrrev_i32_e32 v2, 31, v1
	v_lshlrev_b64 v[6:7], 2, v[1:2]
	v_add_u32_e32 v1, 0x100, v1
	v_add_co_u32_e32 v6, vcc, s2, v6
	v_addc_co_u32_e32 v7, vcc, v4, v7, vcc
	v_cmp_ge_i32_e32 vcc, v1, v3
	s_or_b64 s[6:7], vcc, s[6:7]
	global_store_dword v[6:7], v5, off
	s_andn2_b64 exec, exec, s[6:7]
	s_cbranch_execnz .LBB3_37
.LBB3_38:
	s_or_b64 exec, exec, s[0:1]
.LBB3_39:
	v_mov_b32_e32 v3, 0
	ds_read_b32 v1, v3 offset:12
	s_waitcnt lgkmcnt(0)
	v_cmp_ne_u32_e32 vcc, 0, v1
	s_cbranch_vccz .LBB3_41
; %bb.40:
	ds_read_b32 v1, v3 offset:16
	s_waitcnt lgkmcnt(0)
	v_cmp_ne_u32_e32 vcc, 0, v1
	s_cbranch_vccnz .LBB3_57
	s_branch .LBB3_49
.LBB3_41:
	s_or_b32 s6, s4, 3
	s_cmp_lt_i32 s6, s17
	s_cselect_b64 s[0:1], -1, 0
	s_cmp_ge_i32 s6, s17
	v_mov_b32_e32 v1, 0
	s_cbranch_scc0 .LBB3_44
; %bb.42:
	s_andn2_b64 vcc, exec, s[0:1]
	v_mov_b32_e32 v4, 0
	s_cbranch_vccz .LBB3_45
.LBB3_43:
	v_add_u32_e32 v1, v1, v0
	v_cmp_lt_i32_e32 vcc, v1, v4
	s_and_saveexec_b64 s[0:1], vcc
	s_cbranch_execnz .LBB3_46
	s_branch .LBB3_48
.LBB3_44:
	s_ashr_i32 s5, s4, 31
	s_lshl_b64 s[12:13], s[4:5], 2
	s_add_u32 s12, s8, s12
	s_addc_u32 s13, s9, s13
	v_mov_b32_e32 v1, 0
	global_load_dword v1, v1, s[12:13] offset:12
	s_waitcnt vmcnt(0)
	v_subrev_u32_e32 v1, s16, v1
	s_andn2_b64 vcc, exec, s[0:1]
	v_mov_b32_e32 v4, 0
	s_cbranch_vccnz .LBB3_43
.LBB3_45:
	s_ashr_i32 s5, s4, 31
	s_lshl_b64 s[0:1], s[4:5], 2
	s_add_u32 s0, s10, s0
	s_addc_u32 s1, s11, s1
	v_mov_b32_e32 v2, 0
	global_load_dword v2, v2, s[0:1] offset:12
	s_waitcnt vmcnt(0)
	v_subrev_u32_e32 v4, s16, v2
	v_add_u32_e32 v1, v1, v0
	v_cmp_lt_i32_e32 vcc, v1, v4
	s_and_saveexec_b64 s[0:1], vcc
	s_cbranch_execz .LBB3_48
.LBB3_46:
	s_add_i32 s5, s6, s16
	s_mov_b64 s[6:7], 0
	v_mov_b32_e32 v5, s3
	v_mov_b32_e32 v6, s5
.LBB3_47:                               ; =>This Inner Loop Header: Depth=1
	v_ashrrev_i32_e32 v2, 31, v1
	v_lshlrev_b64 v[7:8], 2, v[1:2]
	v_add_u32_e32 v1, 0x100, v1
	v_add_co_u32_e32 v7, vcc, s2, v7
	v_addc_co_u32_e32 v8, vcc, v5, v8, vcc
	v_cmp_ge_i32_e32 vcc, v1, v4
	s_or_b64 s[6:7], vcc, s[6:7]
	global_store_dword v[7:8], v6, off
	s_andn2_b64 exec, exec, s[6:7]
	s_cbranch_execnz .LBB3_47
.LBB3_48:
	s_or_b64 exec, exec, s[0:1]
	ds_read_b32 v1, v3 offset:16
	s_waitcnt lgkmcnt(0)
	v_cmp_ne_u32_e32 vcc, 0, v1
	s_cbranch_vccnz .LBB3_57
.LBB3_49:
	s_or_b32 s6, s4, 4
	s_cmp_lt_i32 s6, s17
	s_cselect_b64 s[0:1], -1, 0
	s_cmp_ge_i32 s6, s17
	v_mov_b32_e32 v3, 0
	v_mov_b32_e32 v1, 0
	s_cbranch_scc0 .LBB3_52
; %bb.50:
	s_andn2_b64 vcc, exec, s[0:1]
	s_cbranch_vccz .LBB3_53
.LBB3_51:
	v_add_u32_e32 v1, v1, v0
	v_cmp_lt_i32_e32 vcc, v1, v3
	s_and_saveexec_b64 s[0:1], vcc
	s_cbranch_execnz .LBB3_54
	s_branch .LBB3_56
.LBB3_52:
	s_ashr_i32 s5, s4, 31
	s_lshl_b64 s[12:13], s[4:5], 2
	s_add_u32 s12, s8, s12
	s_addc_u32 s13, s9, s13
	v_mov_b32_e32 v1, 0
	global_load_dword v1, v1, s[12:13] offset:16
	s_waitcnt vmcnt(0)
	v_subrev_u32_e32 v1, s16, v1
	s_andn2_b64 vcc, exec, s[0:1]
	s_cbranch_vccnz .LBB3_51
.LBB3_53:
	s_ashr_i32 s5, s4, 31
	s_lshl_b64 s[0:1], s[4:5], 2
	s_add_u32 s0, s10, s0
	s_addc_u32 s1, s11, s1
	v_mov_b32_e32 v2, 0
	global_load_dword v2, v2, s[0:1] offset:16
	s_waitcnt vmcnt(0)
	v_subrev_u32_e32 v3, s16, v2
	v_add_u32_e32 v1, v1, v0
	v_cmp_lt_i32_e32 vcc, v1, v3
	s_and_saveexec_b64 s[0:1], vcc
	s_cbranch_execz .LBB3_56
.LBB3_54:
	s_add_i32 s5, s6, s16
	s_mov_b64 s[6:7], 0
	v_mov_b32_e32 v4, s3
	v_mov_b32_e32 v5, s5
.LBB3_55:                               ; =>This Inner Loop Header: Depth=1
	v_ashrrev_i32_e32 v2, 31, v1
	v_lshlrev_b64 v[6:7], 2, v[1:2]
	v_add_u32_e32 v1, 0x100, v1
	v_add_co_u32_e32 v6, vcc, s2, v6
	v_addc_co_u32_e32 v7, vcc, v4, v7, vcc
	v_cmp_ge_i32_e32 vcc, v1, v3
	s_or_b64 s[6:7], vcc, s[6:7]
	global_store_dword v[6:7], v5, off
	s_andn2_b64 exec, exec, s[6:7]
	s_cbranch_execnz .LBB3_55
.LBB3_56:
	s_or_b64 exec, exec, s[0:1]
.LBB3_57:
	v_mov_b32_e32 v3, 0
	ds_read_b32 v1, v3 offset:20
	s_waitcnt lgkmcnt(0)
	v_cmp_ne_u32_e32 vcc, 0, v1
	s_cbranch_vccz .LBB3_59
; %bb.58:
	ds_read_b32 v1, v3 offset:24
	s_waitcnt lgkmcnt(0)
	v_cmp_ne_u32_e32 vcc, 0, v1
	s_cbranch_vccnz .LBB3_75
	s_branch .LBB3_67
.LBB3_59:
	s_or_b32 s6, s4, 5
	s_cmp_lt_i32 s6, s17
	s_cselect_b64 s[0:1], -1, 0
	s_cmp_ge_i32 s6, s17
	v_mov_b32_e32 v1, 0
	s_cbranch_scc0 .LBB3_62
; %bb.60:
	s_andn2_b64 vcc, exec, s[0:1]
	v_mov_b32_e32 v4, 0
	s_cbranch_vccz .LBB3_63
.LBB3_61:
	v_add_u32_e32 v1, v1, v0
	v_cmp_lt_i32_e32 vcc, v1, v4
	s_and_saveexec_b64 s[0:1], vcc
	s_cbranch_execnz .LBB3_64
	s_branch .LBB3_66
.LBB3_62:
	s_ashr_i32 s5, s4, 31
	s_lshl_b64 s[12:13], s[4:5], 2
	s_add_u32 s12, s8, s12
	s_addc_u32 s13, s9, s13
	v_mov_b32_e32 v1, 0
	global_load_dword v1, v1, s[12:13] offset:20
	s_waitcnt vmcnt(0)
	v_subrev_u32_e32 v1, s16, v1
	s_andn2_b64 vcc, exec, s[0:1]
	v_mov_b32_e32 v4, 0
	s_cbranch_vccnz .LBB3_61
.LBB3_63:
	s_ashr_i32 s5, s4, 31
	s_lshl_b64 s[0:1], s[4:5], 2
	s_add_u32 s0, s10, s0
	s_addc_u32 s1, s11, s1
	v_mov_b32_e32 v2, 0
	global_load_dword v2, v2, s[0:1] offset:20
	s_waitcnt vmcnt(0)
	v_subrev_u32_e32 v4, s16, v2
	v_add_u32_e32 v1, v1, v0
	v_cmp_lt_i32_e32 vcc, v1, v4
	s_and_saveexec_b64 s[0:1], vcc
	s_cbranch_execz .LBB3_66
.LBB3_64:
	s_add_i32 s5, s6, s16
	s_mov_b64 s[6:7], 0
	v_mov_b32_e32 v5, s3
	v_mov_b32_e32 v6, s5
.LBB3_65:                               ; =>This Inner Loop Header: Depth=1
	v_ashrrev_i32_e32 v2, 31, v1
	v_lshlrev_b64 v[7:8], 2, v[1:2]
	v_add_u32_e32 v1, 0x100, v1
	v_add_co_u32_e32 v7, vcc, s2, v7
	v_addc_co_u32_e32 v8, vcc, v5, v8, vcc
	v_cmp_ge_i32_e32 vcc, v1, v4
	s_or_b64 s[6:7], vcc, s[6:7]
	global_store_dword v[7:8], v6, off
	s_andn2_b64 exec, exec, s[6:7]
	s_cbranch_execnz .LBB3_65
.LBB3_66:
	s_or_b64 exec, exec, s[0:1]
	ds_read_b32 v1, v3 offset:24
	s_waitcnt lgkmcnt(0)
	v_cmp_ne_u32_e32 vcc, 0, v1
	s_cbranch_vccnz .LBB3_75
.LBB3_67:
	s_or_b32 s6, s4, 6
	s_cmp_lt_i32 s6, s17
	s_cselect_b64 s[0:1], -1, 0
	s_cmp_ge_i32 s6, s17
	v_mov_b32_e32 v3, 0
	v_mov_b32_e32 v1, 0
	s_cbranch_scc0 .LBB3_70
; %bb.68:
	s_andn2_b64 vcc, exec, s[0:1]
	s_cbranch_vccz .LBB3_71
.LBB3_69:
	v_add_u32_e32 v1, v1, v0
	v_cmp_lt_i32_e32 vcc, v1, v3
	s_and_saveexec_b64 s[0:1], vcc
	s_cbranch_execnz .LBB3_72
	s_branch .LBB3_74
.LBB3_70:
	s_ashr_i32 s5, s4, 31
	s_lshl_b64 s[12:13], s[4:5], 2
	s_add_u32 s12, s8, s12
	s_addc_u32 s13, s9, s13
	v_mov_b32_e32 v1, 0
	global_load_dword v1, v1, s[12:13] offset:24
	s_waitcnt vmcnt(0)
	v_subrev_u32_e32 v1, s16, v1
	s_andn2_b64 vcc, exec, s[0:1]
	s_cbranch_vccnz .LBB3_69
.LBB3_71:
	s_ashr_i32 s5, s4, 31
	s_lshl_b64 s[0:1], s[4:5], 2
	s_add_u32 s0, s10, s0
	s_addc_u32 s1, s11, s1
	v_mov_b32_e32 v2, 0
	global_load_dword v2, v2, s[0:1] offset:24
	s_waitcnt vmcnt(0)
	v_subrev_u32_e32 v3, s16, v2
	v_add_u32_e32 v1, v1, v0
	v_cmp_lt_i32_e32 vcc, v1, v3
	s_and_saveexec_b64 s[0:1], vcc
	s_cbranch_execz .LBB3_74
.LBB3_72:
	s_add_i32 s5, s6, s16
	s_mov_b64 s[6:7], 0
	v_mov_b32_e32 v4, s3
	v_mov_b32_e32 v5, s5
.LBB3_73:                               ; =>This Inner Loop Header: Depth=1
	v_ashrrev_i32_e32 v2, 31, v1
	v_lshlrev_b64 v[6:7], 2, v[1:2]
	v_add_u32_e32 v1, 0x100, v1
	v_add_co_u32_e32 v6, vcc, s2, v6
	v_addc_co_u32_e32 v7, vcc, v4, v7, vcc
	v_cmp_ge_i32_e32 vcc, v1, v3
	s_or_b64 s[6:7], vcc, s[6:7]
	global_store_dword v[6:7], v5, off
	s_andn2_b64 exec, exec, s[6:7]
	s_cbranch_execnz .LBB3_73
.LBB3_74:
	s_or_b64 exec, exec, s[0:1]
.LBB3_75:
	v_mov_b32_e32 v3, 0
	ds_read_b32 v1, v3 offset:28
	s_waitcnt lgkmcnt(0)
	v_cmp_ne_u32_e32 vcc, 0, v1
	s_cbranch_vccz .LBB3_77
; %bb.76:
	ds_read_b32 v1, v3 offset:32
	s_waitcnt lgkmcnt(0)
	v_cmp_ne_u32_e32 vcc, 0, v1
	s_cbranch_vccnz .LBB3_93
	s_branch .LBB3_85
.LBB3_77:
	s_or_b32 s6, s4, 7
	s_cmp_lt_i32 s6, s17
	s_cselect_b64 s[0:1], -1, 0
	s_cmp_ge_i32 s6, s17
	v_mov_b32_e32 v1, 0
	s_cbranch_scc0 .LBB3_80
; %bb.78:
	s_andn2_b64 vcc, exec, s[0:1]
	v_mov_b32_e32 v4, 0
	s_cbranch_vccz .LBB3_81
.LBB3_79:
	v_add_u32_e32 v1, v1, v0
	v_cmp_lt_i32_e32 vcc, v1, v4
	s_and_saveexec_b64 s[0:1], vcc
	s_cbranch_execnz .LBB3_82
	s_branch .LBB3_84
.LBB3_80:
	s_ashr_i32 s5, s4, 31
	s_lshl_b64 s[12:13], s[4:5], 2
	s_add_u32 s12, s8, s12
	s_addc_u32 s13, s9, s13
	v_mov_b32_e32 v1, 0
	global_load_dword v1, v1, s[12:13] offset:28
	s_waitcnt vmcnt(0)
	v_subrev_u32_e32 v1, s16, v1
	s_andn2_b64 vcc, exec, s[0:1]
	v_mov_b32_e32 v4, 0
	s_cbranch_vccnz .LBB3_79
.LBB3_81:
	s_ashr_i32 s5, s4, 31
	s_lshl_b64 s[0:1], s[4:5], 2
	s_add_u32 s0, s10, s0
	s_addc_u32 s1, s11, s1
	v_mov_b32_e32 v2, 0
	global_load_dword v2, v2, s[0:1] offset:28
	s_waitcnt vmcnt(0)
	v_subrev_u32_e32 v4, s16, v2
	v_add_u32_e32 v1, v1, v0
	v_cmp_lt_i32_e32 vcc, v1, v4
	s_and_saveexec_b64 s[0:1], vcc
	s_cbranch_execz .LBB3_84
.LBB3_82:
	s_add_i32 s5, s6, s16
	s_mov_b64 s[6:7], 0
	v_mov_b32_e32 v5, s3
	v_mov_b32_e32 v6, s5
.LBB3_83:                               ; =>This Inner Loop Header: Depth=1
	v_ashrrev_i32_e32 v2, 31, v1
	v_lshlrev_b64 v[7:8], 2, v[1:2]
	v_add_u32_e32 v1, 0x100, v1
	v_add_co_u32_e32 v7, vcc, s2, v7
	v_addc_co_u32_e32 v8, vcc, v5, v8, vcc
	v_cmp_ge_i32_e32 vcc, v1, v4
	s_or_b64 s[6:7], vcc, s[6:7]
	global_store_dword v[7:8], v6, off
	s_andn2_b64 exec, exec, s[6:7]
	s_cbranch_execnz .LBB3_83
.LBB3_84:
	s_or_b64 exec, exec, s[0:1]
	ds_read_b32 v1, v3 offset:32
	s_waitcnt lgkmcnt(0)
	v_cmp_ne_u32_e32 vcc, 0, v1
	s_cbranch_vccnz .LBB3_93
.LBB3_85:
	s_or_b32 s6, s4, 8
	s_cmp_lt_i32 s6, s17
	s_cselect_b64 s[0:1], -1, 0
	s_cmp_ge_i32 s6, s17
	v_mov_b32_e32 v3, 0
	v_mov_b32_e32 v1, 0
	s_cbranch_scc0 .LBB3_88
; %bb.86:
	s_andn2_b64 vcc, exec, s[0:1]
	s_cbranch_vccz .LBB3_89
.LBB3_87:
	v_add_u32_e32 v1, v1, v0
	v_cmp_lt_i32_e32 vcc, v1, v3
	s_and_saveexec_b64 s[0:1], vcc
	s_cbranch_execnz .LBB3_90
	s_branch .LBB3_92
.LBB3_88:
	s_ashr_i32 s5, s4, 31
	s_lshl_b64 s[12:13], s[4:5], 2
	s_add_u32 s12, s8, s12
	s_addc_u32 s13, s9, s13
	v_mov_b32_e32 v1, 0
	global_load_dword v1, v1, s[12:13] offset:32
	s_waitcnt vmcnt(0)
	v_subrev_u32_e32 v1, s16, v1
	s_andn2_b64 vcc, exec, s[0:1]
	s_cbranch_vccnz .LBB3_87
.LBB3_89:
	s_ashr_i32 s5, s4, 31
	s_lshl_b64 s[0:1], s[4:5], 2
	s_add_u32 s0, s10, s0
	s_addc_u32 s1, s11, s1
	v_mov_b32_e32 v2, 0
	global_load_dword v2, v2, s[0:1] offset:32
	s_waitcnt vmcnt(0)
	v_subrev_u32_e32 v3, s16, v2
	v_add_u32_e32 v1, v1, v0
	v_cmp_lt_i32_e32 vcc, v1, v3
	s_and_saveexec_b64 s[0:1], vcc
	s_cbranch_execz .LBB3_92
.LBB3_90:
	s_add_i32 s5, s6, s16
	s_mov_b64 s[6:7], 0
	v_mov_b32_e32 v4, s3
	v_mov_b32_e32 v5, s5
.LBB3_91:                               ; =>This Inner Loop Header: Depth=1
	v_ashrrev_i32_e32 v2, 31, v1
	v_lshlrev_b64 v[6:7], 2, v[1:2]
	v_add_u32_e32 v1, 0x100, v1
	v_add_co_u32_e32 v6, vcc, s2, v6
	v_addc_co_u32_e32 v7, vcc, v4, v7, vcc
	v_cmp_ge_i32_e32 vcc, v1, v3
	s_or_b64 s[6:7], vcc, s[6:7]
	global_store_dword v[6:7], v5, off
	s_andn2_b64 exec, exec, s[6:7]
	s_cbranch_execnz .LBB3_91
.LBB3_92:
	s_or_b64 exec, exec, s[0:1]
.LBB3_93:
	v_mov_b32_e32 v3, 0
	ds_read_b32 v1, v3 offset:36
	s_waitcnt lgkmcnt(0)
	v_cmp_ne_u32_e32 vcc, 0, v1
	s_cbranch_vccz .LBB3_95
; %bb.94:
	ds_read_b32 v1, v3 offset:40
	s_waitcnt lgkmcnt(0)
	v_cmp_ne_u32_e32 vcc, 0, v1
	s_cbranch_vccnz .LBB3_111
	s_branch .LBB3_103
.LBB3_95:
	s_or_b32 s6, s4, 9
	s_cmp_lt_i32 s6, s17
	s_cselect_b64 s[0:1], -1, 0
	s_cmp_ge_i32 s6, s17
	v_mov_b32_e32 v1, 0
	s_cbranch_scc0 .LBB3_98
; %bb.96:
	s_andn2_b64 vcc, exec, s[0:1]
	v_mov_b32_e32 v4, 0
	s_cbranch_vccz .LBB3_99
.LBB3_97:
	v_add_u32_e32 v1, v1, v0
	v_cmp_lt_i32_e32 vcc, v1, v4
	s_and_saveexec_b64 s[0:1], vcc
	s_cbranch_execnz .LBB3_100
	s_branch .LBB3_102
.LBB3_98:
	s_ashr_i32 s5, s4, 31
	s_lshl_b64 s[12:13], s[4:5], 2
	s_add_u32 s12, s8, s12
	s_addc_u32 s13, s9, s13
	v_mov_b32_e32 v1, 0
	global_load_dword v1, v1, s[12:13] offset:36
	s_waitcnt vmcnt(0)
	v_subrev_u32_e32 v1, s16, v1
	s_andn2_b64 vcc, exec, s[0:1]
	v_mov_b32_e32 v4, 0
	s_cbranch_vccnz .LBB3_97
.LBB3_99:
	s_ashr_i32 s5, s4, 31
	s_lshl_b64 s[0:1], s[4:5], 2
	s_add_u32 s0, s10, s0
	s_addc_u32 s1, s11, s1
	v_mov_b32_e32 v2, 0
	global_load_dword v2, v2, s[0:1] offset:36
	s_waitcnt vmcnt(0)
	v_subrev_u32_e32 v4, s16, v2
	v_add_u32_e32 v1, v1, v0
	v_cmp_lt_i32_e32 vcc, v1, v4
	s_and_saveexec_b64 s[0:1], vcc
	s_cbranch_execz .LBB3_102
.LBB3_100:
	s_add_i32 s5, s6, s16
	s_mov_b64 s[6:7], 0
	v_mov_b32_e32 v5, s3
	v_mov_b32_e32 v6, s5
.LBB3_101:                              ; =>This Inner Loop Header: Depth=1
	v_ashrrev_i32_e32 v2, 31, v1
	v_lshlrev_b64 v[7:8], 2, v[1:2]
	v_add_u32_e32 v1, 0x100, v1
	v_add_co_u32_e32 v7, vcc, s2, v7
	v_addc_co_u32_e32 v8, vcc, v5, v8, vcc
	v_cmp_ge_i32_e32 vcc, v1, v4
	s_or_b64 s[6:7], vcc, s[6:7]
	global_store_dword v[7:8], v6, off
	s_andn2_b64 exec, exec, s[6:7]
	s_cbranch_execnz .LBB3_101
.LBB3_102:
	s_or_b64 exec, exec, s[0:1]
	ds_read_b32 v1, v3 offset:40
	s_waitcnt lgkmcnt(0)
	v_cmp_ne_u32_e32 vcc, 0, v1
	s_cbranch_vccnz .LBB3_111
.LBB3_103:
	s_or_b32 s6, s4, 10
	s_cmp_lt_i32 s6, s17
	s_cselect_b64 s[0:1], -1, 0
	s_cmp_ge_i32 s6, s17
	v_mov_b32_e32 v3, 0
	v_mov_b32_e32 v1, 0
	s_cbranch_scc0 .LBB3_106
; %bb.104:
	s_andn2_b64 vcc, exec, s[0:1]
	s_cbranch_vccz .LBB3_107
.LBB3_105:
	v_add_u32_e32 v1, v1, v0
	v_cmp_lt_i32_e32 vcc, v1, v3
	s_and_saveexec_b64 s[0:1], vcc
	s_cbranch_execnz .LBB3_108
	s_branch .LBB3_110
.LBB3_106:
	s_ashr_i32 s5, s4, 31
	s_lshl_b64 s[12:13], s[4:5], 2
	s_add_u32 s12, s8, s12
	s_addc_u32 s13, s9, s13
	v_mov_b32_e32 v1, 0
	global_load_dword v1, v1, s[12:13] offset:40
	s_waitcnt vmcnt(0)
	v_subrev_u32_e32 v1, s16, v1
	s_andn2_b64 vcc, exec, s[0:1]
	s_cbranch_vccnz .LBB3_105
.LBB3_107:
	s_ashr_i32 s5, s4, 31
	s_lshl_b64 s[0:1], s[4:5], 2
	s_add_u32 s0, s10, s0
	s_addc_u32 s1, s11, s1
	v_mov_b32_e32 v2, 0
	global_load_dword v2, v2, s[0:1] offset:40
	s_waitcnt vmcnt(0)
	v_subrev_u32_e32 v3, s16, v2
	v_add_u32_e32 v1, v1, v0
	v_cmp_lt_i32_e32 vcc, v1, v3
	s_and_saveexec_b64 s[0:1], vcc
	s_cbranch_execz .LBB3_110
.LBB3_108:
	s_add_i32 s5, s6, s16
	s_mov_b64 s[6:7], 0
	v_mov_b32_e32 v4, s3
	v_mov_b32_e32 v5, s5
.LBB3_109:                              ; =>This Inner Loop Header: Depth=1
	v_ashrrev_i32_e32 v2, 31, v1
	v_lshlrev_b64 v[6:7], 2, v[1:2]
	v_add_u32_e32 v1, 0x100, v1
	v_add_co_u32_e32 v6, vcc, s2, v6
	v_addc_co_u32_e32 v7, vcc, v4, v7, vcc
	v_cmp_ge_i32_e32 vcc, v1, v3
	s_or_b64 s[6:7], vcc, s[6:7]
	global_store_dword v[6:7], v5, off
	s_andn2_b64 exec, exec, s[6:7]
	s_cbranch_execnz .LBB3_109
.LBB3_110:
	s_or_b64 exec, exec, s[0:1]
.LBB3_111:
	v_mov_b32_e32 v3, 0
	ds_read_b32 v1, v3 offset:44
	s_waitcnt lgkmcnt(0)
	v_cmp_ne_u32_e32 vcc, 0, v1
	s_cbranch_vccz .LBB3_113
; %bb.112:
	ds_read_b32 v1, v3 offset:48
	s_waitcnt lgkmcnt(0)
	v_cmp_ne_u32_e32 vcc, 0, v1
	s_cbranch_vccnz .LBB3_129
	s_branch .LBB3_121
.LBB3_113:
	s_or_b32 s6, s4, 11
	s_cmp_lt_i32 s6, s17
	s_cselect_b64 s[0:1], -1, 0
	s_cmp_ge_i32 s6, s17
	v_mov_b32_e32 v1, 0
	s_cbranch_scc0 .LBB3_116
; %bb.114:
	s_andn2_b64 vcc, exec, s[0:1]
	v_mov_b32_e32 v4, 0
	s_cbranch_vccz .LBB3_117
.LBB3_115:
	v_add_u32_e32 v1, v1, v0
	v_cmp_lt_i32_e32 vcc, v1, v4
	s_and_saveexec_b64 s[0:1], vcc
	s_cbranch_execnz .LBB3_118
	s_branch .LBB3_120
.LBB3_116:
	s_ashr_i32 s5, s4, 31
	s_lshl_b64 s[12:13], s[4:5], 2
	s_add_u32 s12, s8, s12
	s_addc_u32 s13, s9, s13
	v_mov_b32_e32 v1, 0
	global_load_dword v1, v1, s[12:13] offset:44
	s_waitcnt vmcnt(0)
	v_subrev_u32_e32 v1, s16, v1
	s_andn2_b64 vcc, exec, s[0:1]
	v_mov_b32_e32 v4, 0
	s_cbranch_vccnz .LBB3_115
.LBB3_117:
	s_ashr_i32 s5, s4, 31
	s_lshl_b64 s[0:1], s[4:5], 2
	s_add_u32 s0, s10, s0
	s_addc_u32 s1, s11, s1
	v_mov_b32_e32 v2, 0
	global_load_dword v2, v2, s[0:1] offset:44
	s_waitcnt vmcnt(0)
	v_subrev_u32_e32 v4, s16, v2
	v_add_u32_e32 v1, v1, v0
	v_cmp_lt_i32_e32 vcc, v1, v4
	s_and_saveexec_b64 s[0:1], vcc
	s_cbranch_execz .LBB3_120
.LBB3_118:
	s_add_i32 s5, s6, s16
	s_mov_b64 s[6:7], 0
	v_mov_b32_e32 v5, s3
	v_mov_b32_e32 v6, s5
.LBB3_119:                              ; =>This Inner Loop Header: Depth=1
	v_ashrrev_i32_e32 v2, 31, v1
	v_lshlrev_b64 v[7:8], 2, v[1:2]
	v_add_u32_e32 v1, 0x100, v1
	v_add_co_u32_e32 v7, vcc, s2, v7
	v_addc_co_u32_e32 v8, vcc, v5, v8, vcc
	v_cmp_ge_i32_e32 vcc, v1, v4
	s_or_b64 s[6:7], vcc, s[6:7]
	global_store_dword v[7:8], v6, off
	s_andn2_b64 exec, exec, s[6:7]
	s_cbranch_execnz .LBB3_119
.LBB3_120:
	s_or_b64 exec, exec, s[0:1]
	ds_read_b32 v1, v3 offset:48
	s_waitcnt lgkmcnt(0)
	v_cmp_ne_u32_e32 vcc, 0, v1
	s_cbranch_vccnz .LBB3_129
.LBB3_121:
	s_or_b32 s6, s4, 12
	s_cmp_lt_i32 s6, s17
	s_cselect_b64 s[0:1], -1, 0
	s_cmp_ge_i32 s6, s17
	v_mov_b32_e32 v3, 0
	v_mov_b32_e32 v1, 0
	s_cbranch_scc0 .LBB3_124
; %bb.122:
	s_andn2_b64 vcc, exec, s[0:1]
	s_cbranch_vccz .LBB3_125
.LBB3_123:
	v_add_u32_e32 v1, v1, v0
	v_cmp_lt_i32_e32 vcc, v1, v3
	s_and_saveexec_b64 s[0:1], vcc
	s_cbranch_execnz .LBB3_126
	s_branch .LBB3_128
.LBB3_124:
	s_ashr_i32 s5, s4, 31
	s_lshl_b64 s[12:13], s[4:5], 2
	s_add_u32 s12, s8, s12
	s_addc_u32 s13, s9, s13
	v_mov_b32_e32 v1, 0
	global_load_dword v1, v1, s[12:13] offset:48
	s_waitcnt vmcnt(0)
	v_subrev_u32_e32 v1, s16, v1
	s_andn2_b64 vcc, exec, s[0:1]
	s_cbranch_vccnz .LBB3_123
.LBB3_125:
	s_ashr_i32 s5, s4, 31
	s_lshl_b64 s[0:1], s[4:5], 2
	s_add_u32 s0, s10, s0
	s_addc_u32 s1, s11, s1
	v_mov_b32_e32 v2, 0
	global_load_dword v2, v2, s[0:1] offset:48
	s_waitcnt vmcnt(0)
	v_subrev_u32_e32 v3, s16, v2
	v_add_u32_e32 v1, v1, v0
	v_cmp_lt_i32_e32 vcc, v1, v3
	s_and_saveexec_b64 s[0:1], vcc
	s_cbranch_execz .LBB3_128
.LBB3_126:
	s_add_i32 s5, s6, s16
	s_mov_b64 s[6:7], 0
	v_mov_b32_e32 v4, s3
	v_mov_b32_e32 v5, s5
.LBB3_127:                              ; =>This Inner Loop Header: Depth=1
	v_ashrrev_i32_e32 v2, 31, v1
	v_lshlrev_b64 v[6:7], 2, v[1:2]
	v_add_u32_e32 v1, 0x100, v1
	v_add_co_u32_e32 v6, vcc, s2, v6
	v_addc_co_u32_e32 v7, vcc, v4, v7, vcc
	v_cmp_ge_i32_e32 vcc, v1, v3
	s_or_b64 s[6:7], vcc, s[6:7]
	global_store_dword v[6:7], v5, off
	s_andn2_b64 exec, exec, s[6:7]
	s_cbranch_execnz .LBB3_127
.LBB3_128:
	s_or_b64 exec, exec, s[0:1]
.LBB3_129:
	v_mov_b32_e32 v3, 0
	ds_read_b32 v1, v3 offset:52
	s_waitcnt lgkmcnt(0)
	v_cmp_ne_u32_e32 vcc, 0, v1
	s_cbranch_vccz .LBB3_131
; %bb.130:
	ds_read_b32 v1, v3 offset:56
	s_waitcnt lgkmcnt(0)
	v_cmp_ne_u32_e32 vcc, 0, v1
	s_cbranch_vccnz .LBB3_147
	s_branch .LBB3_139
.LBB3_131:
	s_or_b32 s6, s4, 13
	s_cmp_lt_i32 s6, s17
	s_cselect_b64 s[0:1], -1, 0
	s_cmp_ge_i32 s6, s17
	v_mov_b32_e32 v1, 0
	s_cbranch_scc0 .LBB3_134
; %bb.132:
	s_andn2_b64 vcc, exec, s[0:1]
	v_mov_b32_e32 v4, 0
	s_cbranch_vccz .LBB3_135
.LBB3_133:
	v_add_u32_e32 v1, v1, v0
	v_cmp_lt_i32_e32 vcc, v1, v4
	s_and_saveexec_b64 s[0:1], vcc
	s_cbranch_execnz .LBB3_136
	s_branch .LBB3_138
.LBB3_134:
	s_ashr_i32 s5, s4, 31
	s_lshl_b64 s[12:13], s[4:5], 2
	s_add_u32 s12, s8, s12
	s_addc_u32 s13, s9, s13
	v_mov_b32_e32 v1, 0
	global_load_dword v1, v1, s[12:13] offset:52
	s_waitcnt vmcnt(0)
	v_subrev_u32_e32 v1, s16, v1
	s_andn2_b64 vcc, exec, s[0:1]
	v_mov_b32_e32 v4, 0
	s_cbranch_vccnz .LBB3_133
.LBB3_135:
	s_ashr_i32 s5, s4, 31
	s_lshl_b64 s[0:1], s[4:5], 2
	s_add_u32 s0, s10, s0
	s_addc_u32 s1, s11, s1
	v_mov_b32_e32 v2, 0
	global_load_dword v2, v2, s[0:1] offset:52
	s_waitcnt vmcnt(0)
	v_subrev_u32_e32 v4, s16, v2
	v_add_u32_e32 v1, v1, v0
	v_cmp_lt_i32_e32 vcc, v1, v4
	s_and_saveexec_b64 s[0:1], vcc
	s_cbranch_execz .LBB3_138
.LBB3_136:
	s_add_i32 s5, s6, s16
	s_mov_b64 s[6:7], 0
	v_mov_b32_e32 v5, s3
	v_mov_b32_e32 v6, s5
.LBB3_137:                              ; =>This Inner Loop Header: Depth=1
	v_ashrrev_i32_e32 v2, 31, v1
	v_lshlrev_b64 v[7:8], 2, v[1:2]
	v_add_u32_e32 v1, 0x100, v1
	v_add_co_u32_e32 v7, vcc, s2, v7
	v_addc_co_u32_e32 v8, vcc, v5, v8, vcc
	v_cmp_ge_i32_e32 vcc, v1, v4
	s_or_b64 s[6:7], vcc, s[6:7]
	global_store_dword v[7:8], v6, off
	s_andn2_b64 exec, exec, s[6:7]
	s_cbranch_execnz .LBB3_137
.LBB3_138:
	s_or_b64 exec, exec, s[0:1]
	ds_read_b32 v1, v3 offset:56
	s_waitcnt lgkmcnt(0)
	v_cmp_ne_u32_e32 vcc, 0, v1
	s_cbranch_vccnz .LBB3_147
.LBB3_139:
	s_or_b32 s6, s4, 14
	s_cmp_lt_i32 s6, s17
	s_cselect_b64 s[0:1], -1, 0
	s_cmp_ge_i32 s6, s17
	v_mov_b32_e32 v3, 0
	v_mov_b32_e32 v1, 0
	s_cbranch_scc0 .LBB3_142
; %bb.140:
	s_andn2_b64 vcc, exec, s[0:1]
	s_cbranch_vccz .LBB3_143
.LBB3_141:
	v_add_u32_e32 v1, v1, v0
	v_cmp_lt_i32_e32 vcc, v1, v3
	s_and_saveexec_b64 s[0:1], vcc
	s_cbranch_execnz .LBB3_144
	s_branch .LBB3_146
.LBB3_142:
	s_ashr_i32 s5, s4, 31
	s_lshl_b64 s[12:13], s[4:5], 2
	s_add_u32 s12, s8, s12
	s_addc_u32 s13, s9, s13
	v_mov_b32_e32 v1, 0
	global_load_dword v1, v1, s[12:13] offset:56
	s_waitcnt vmcnt(0)
	v_subrev_u32_e32 v1, s16, v1
	s_andn2_b64 vcc, exec, s[0:1]
	s_cbranch_vccnz .LBB3_141
.LBB3_143:
	s_ashr_i32 s5, s4, 31
	s_lshl_b64 s[0:1], s[4:5], 2
	s_add_u32 s0, s10, s0
	s_addc_u32 s1, s11, s1
	v_mov_b32_e32 v2, 0
	global_load_dword v2, v2, s[0:1] offset:56
	s_waitcnt vmcnt(0)
	v_subrev_u32_e32 v3, s16, v2
	v_add_u32_e32 v1, v1, v0
	v_cmp_lt_i32_e32 vcc, v1, v3
	s_and_saveexec_b64 s[0:1], vcc
	s_cbranch_execz .LBB3_146
.LBB3_144:
	s_add_i32 s5, s6, s16
	s_mov_b64 s[6:7], 0
	v_mov_b32_e32 v4, s3
	v_mov_b32_e32 v5, s5
.LBB3_145:                              ; =>This Inner Loop Header: Depth=1
	v_ashrrev_i32_e32 v2, 31, v1
	v_lshlrev_b64 v[6:7], 2, v[1:2]
	v_add_u32_e32 v1, 0x100, v1
	v_add_co_u32_e32 v6, vcc, s2, v6
	v_addc_co_u32_e32 v7, vcc, v4, v7, vcc
	v_cmp_ge_i32_e32 vcc, v1, v3
	s_or_b64 s[6:7], vcc, s[6:7]
	global_store_dword v[6:7], v5, off
	s_andn2_b64 exec, exec, s[6:7]
	s_cbranch_execnz .LBB3_145
.LBB3_146:
	s_or_b64 exec, exec, s[0:1]
.LBB3_147:
	v_mov_b32_e32 v1, 0
	ds_read_b32 v2, v1 offset:60
	s_waitcnt lgkmcnt(0)
	v_cmp_ne_u32_e32 vcc, 0, v2
	s_cbranch_vccnz .LBB3_155
; %bb.148:
	s_or_b32 s6, s4, 15
	s_cmp_lt_i32 s6, s17
	s_cselect_b64 s[0:1], -1, 0
	s_cmp_ge_i32 s6, s17
	s_cbranch_scc0 .LBB3_151
; %bb.149:
	s_andn2_b64 vcc, exec, s[0:1]
	v_mov_b32_e32 v2, 0
	s_cbranch_vccz .LBB3_152
.LBB3_150:
	v_add_u32_e32 v0, v1, v0
	v_cmp_lt_i32_e32 vcc, v0, v2
	s_and_saveexec_b64 s[0:1], vcc
	s_cbranch_execnz .LBB3_153
	s_branch .LBB3_155
.LBB3_151:
	s_ashr_i32 s5, s4, 31
	s_lshl_b64 s[12:13], s[4:5], 2
	s_add_u32 s8, s8, s12
	s_addc_u32 s9, s9, s13
	v_mov_b32_e32 v1, 0
	global_load_dword v1, v1, s[8:9] offset:60
	s_waitcnt vmcnt(0)
	v_subrev_u32_e32 v1, s16, v1
	s_andn2_b64 vcc, exec, s[0:1]
	v_mov_b32_e32 v2, 0
	s_cbranch_vccnz .LBB3_150
.LBB3_152:
	s_ashr_i32 s5, s4, 31
	s_lshl_b64 s[0:1], s[4:5], 2
	s_add_u32 s0, s10, s0
	s_addc_u32 s1, s11, s1
	v_mov_b32_e32 v2, 0
	global_load_dword v2, v2, s[0:1] offset:60
	s_waitcnt vmcnt(0)
	v_subrev_u32_e32 v2, s16, v2
	v_add_u32_e32 v0, v1, v0
	v_cmp_lt_i32_e32 vcc, v0, v2
	s_and_saveexec_b64 s[0:1], vcc
	s_cbranch_execz .LBB3_155
.LBB3_153:
	s_add_i32 s4, s6, s16
	s_mov_b64 s[0:1], 0
	v_mov_b32_e32 v3, s3
	v_mov_b32_e32 v4, s4
.LBB3_154:                              ; =>This Inner Loop Header: Depth=1
	v_ashrrev_i32_e32 v1, 31, v0
	v_lshlrev_b64 v[5:6], 2, v[0:1]
	v_add_u32_e32 v0, 0x100, v0
	v_add_co_u32_e32 v5, vcc, s2, v5
	v_addc_co_u32_e32 v6, vcc, v3, v6, vcc
	v_cmp_ge_i32_e32 vcc, v0, v2
	s_or_b64 s[0:1], vcc, s[0:1]
	global_store_dword v[5:6], v4, off
	s_andn2_b64 exec, exec, s[0:1]
	s_cbranch_execnz .LBB3_154
.LBB3_155:
	s_endpgm
	.section	.rodata,"a",@progbits
	.p2align	6, 0x0
	.amdhsa_kernel _ZN9rocsparseL14csr2coo_kernelILj256ELj16EiiEEvT2_PKT1_S4_PS1_21rocsparse_index_base_
		.amdhsa_group_segment_fixed_size 68
		.amdhsa_private_segment_fixed_size 0
		.amdhsa_kernarg_size 36
		.amdhsa_user_sgpr_count 6
		.amdhsa_user_sgpr_private_segment_buffer 1
		.amdhsa_user_sgpr_dispatch_ptr 0
		.amdhsa_user_sgpr_queue_ptr 0
		.amdhsa_user_sgpr_kernarg_segment_ptr 1
		.amdhsa_user_sgpr_dispatch_id 0
		.amdhsa_user_sgpr_flat_scratch_init 0
		.amdhsa_user_sgpr_private_segment_size 0
		.amdhsa_uses_dynamic_stack 0
		.amdhsa_system_sgpr_private_segment_wavefront_offset 0
		.amdhsa_system_sgpr_workgroup_id_x 1
		.amdhsa_system_sgpr_workgroup_id_y 0
		.amdhsa_system_sgpr_workgroup_id_z 0
		.amdhsa_system_sgpr_workgroup_info 0
		.amdhsa_system_vgpr_workitem_id 0
		.amdhsa_next_free_vgpr 9
		.amdhsa_next_free_sgpr 18
		.amdhsa_reserve_vcc 1
		.amdhsa_reserve_flat_scratch 0
		.amdhsa_float_round_mode_32 0
		.amdhsa_float_round_mode_16_64 0
		.amdhsa_float_denorm_mode_32 3
		.amdhsa_float_denorm_mode_16_64 3
		.amdhsa_dx10_clamp 1
		.amdhsa_ieee_mode 1
		.amdhsa_fp16_overflow 0
		.amdhsa_exception_fp_ieee_invalid_op 0
		.amdhsa_exception_fp_denorm_src 0
		.amdhsa_exception_fp_ieee_div_zero 0
		.amdhsa_exception_fp_ieee_overflow 0
		.amdhsa_exception_fp_ieee_underflow 0
		.amdhsa_exception_fp_ieee_inexact 0
		.amdhsa_exception_int_div_zero 0
	.end_amdhsa_kernel
	.section	.text._ZN9rocsparseL14csr2coo_kernelILj256ELj16EiiEEvT2_PKT1_S4_PS1_21rocsparse_index_base_,"axG",@progbits,_ZN9rocsparseL14csr2coo_kernelILj256ELj16EiiEEvT2_PKT1_S4_PS1_21rocsparse_index_base_,comdat
.Lfunc_end3:
	.size	_ZN9rocsparseL14csr2coo_kernelILj256ELj16EiiEEvT2_PKT1_S4_PS1_21rocsparse_index_base_, .Lfunc_end3-_ZN9rocsparseL14csr2coo_kernelILj256ELj16EiiEEvT2_PKT1_S4_PS1_21rocsparse_index_base_
                                        ; -- End function
	.set _ZN9rocsparseL14csr2coo_kernelILj256ELj16EiiEEvT2_PKT1_S4_PS1_21rocsparse_index_base_.num_vgpr, 9
	.set _ZN9rocsparseL14csr2coo_kernelILj256ELj16EiiEEvT2_PKT1_S4_PS1_21rocsparse_index_base_.num_agpr, 0
	.set _ZN9rocsparseL14csr2coo_kernelILj256ELj16EiiEEvT2_PKT1_S4_PS1_21rocsparse_index_base_.numbered_sgpr, 18
	.set _ZN9rocsparseL14csr2coo_kernelILj256ELj16EiiEEvT2_PKT1_S4_PS1_21rocsparse_index_base_.num_named_barrier, 0
	.set _ZN9rocsparseL14csr2coo_kernelILj256ELj16EiiEEvT2_PKT1_S4_PS1_21rocsparse_index_base_.private_seg_size, 0
	.set _ZN9rocsparseL14csr2coo_kernelILj256ELj16EiiEEvT2_PKT1_S4_PS1_21rocsparse_index_base_.uses_vcc, 1
	.set _ZN9rocsparseL14csr2coo_kernelILj256ELj16EiiEEvT2_PKT1_S4_PS1_21rocsparse_index_base_.uses_flat_scratch, 0
	.set _ZN9rocsparseL14csr2coo_kernelILj256ELj16EiiEEvT2_PKT1_S4_PS1_21rocsparse_index_base_.has_dyn_sized_stack, 0
	.set _ZN9rocsparseL14csr2coo_kernelILj256ELj16EiiEEvT2_PKT1_S4_PS1_21rocsparse_index_base_.has_recursion, 0
	.set _ZN9rocsparseL14csr2coo_kernelILj256ELj16EiiEEvT2_PKT1_S4_PS1_21rocsparse_index_base_.has_indirect_call, 0
	.section	.AMDGPU.csdata,"",@progbits
; Kernel info:
; codeLenInByte = 4520
; TotalNumSgprs: 22
; NumVgprs: 9
; ScratchSize: 0
; MemoryBound: 0
; FloatMode: 240
; IeeeMode: 1
; LDSByteSize: 68 bytes/workgroup (compile time only)
; SGPRBlocks: 2
; VGPRBlocks: 2
; NumSGPRsForWavesPerEU: 22
; NumVGPRsForWavesPerEU: 9
; Occupancy: 10
; WaveLimiterHint : 0
; COMPUTE_PGM_RSRC2:SCRATCH_EN: 0
; COMPUTE_PGM_RSRC2:USER_SGPR: 6
; COMPUTE_PGM_RSRC2:TRAP_HANDLER: 0
; COMPUTE_PGM_RSRC2:TGID_X_EN: 1
; COMPUTE_PGM_RSRC2:TGID_Y_EN: 0
; COMPUTE_PGM_RSRC2:TGID_Z_EN: 0
; COMPUTE_PGM_RSRC2:TIDIG_COMP_CNT: 0
	.section	.text._ZN9rocsparseL14csr2coo_kernelILj256ELj32EiiEEvT2_PKT1_S4_PS1_21rocsparse_index_base_,"axG",@progbits,_ZN9rocsparseL14csr2coo_kernelILj256ELj32EiiEEvT2_PKT1_S4_PS1_21rocsparse_index_base_,comdat
	.globl	_ZN9rocsparseL14csr2coo_kernelILj256ELj32EiiEEvT2_PKT1_S4_PS1_21rocsparse_index_base_ ; -- Begin function _ZN9rocsparseL14csr2coo_kernelILj256ELj32EiiEEvT2_PKT1_S4_PS1_21rocsparse_index_base_
	.p2align	8
	.type	_ZN9rocsparseL14csr2coo_kernelILj256ELj32EiiEEvT2_PKT1_S4_PS1_21rocsparse_index_base_,@function
_ZN9rocsparseL14csr2coo_kernelILj256ELj32EiiEEvT2_PKT1_S4_PS1_21rocsparse_index_base_: ; @_ZN9rocsparseL14csr2coo_kernelILj256ELj32EiiEEvT2_PKT1_S4_PS1_21rocsparse_index_base_
; %bb.0:
	s_load_dword s17, s[4:5], 0x0
	s_load_dwordx4 s[8:11], s[4:5], 0x8
	s_load_dwordx2 s[2:3], s[4:5], 0x18
	s_load_dword s16, s[4:5], 0x20
	v_lshrrev_b32_e32 v4, 5, v0
	v_mov_b32_e32 v1, 1
	v_mov_b32_e32 v5, 0
	s_lshl_b32 s4, s6, 3
	ds_write_b32 v5, v1 offset:32
	v_or_b32_e32 v1, s4, v4
	s_waitcnt lgkmcnt(0)
	v_cmp_gt_i32_e32 vcc, s17, v1
	v_ashrrev_i32_e32 v2, 31, v1
	v_mov_b32_e32 v3, 0
	s_barrier
	s_and_saveexec_b64 s[6:7], vcc
	s_cbranch_execz .LBB4_2
; %bb.1:
	v_lshlrev_b64 v[6:7], 2, v[1:2]
	v_mov_b32_e32 v3, s9
	v_add_co_u32_e64 v6, s[0:1], s8, v6
	v_addc_co_u32_e64 v7, s[0:1], v3, v7, s[0:1]
	global_load_dword v3, v[6:7], off
	s_waitcnt vmcnt(0)
	v_subrev_u32_e32 v3, s16, v3
.LBB4_2:
	s_or_b64 exec, exec, s[6:7]
	s_and_saveexec_b64 s[0:1], vcc
	s_cbranch_execz .LBB4_4
; %bb.3:
	v_lshlrev_b64 v[5:6], 2, v[1:2]
	v_mov_b32_e32 v2, s11
	v_add_co_u32_e32 v5, vcc, s10, v5
	v_addc_co_u32_e32 v6, vcc, v2, v6, vcc
	global_load_dword v2, v[5:6], off
	s_waitcnt vmcnt(0)
	v_subrev_u32_e32 v5, s16, v2
.LBB4_4:
	s_or_b64 exec, exec, s[0:1]
	v_sub_u32_e32 v2, v5, v3
	s_movk_i32 s0, 0x101
	v_cmp_gt_u32_e32 vcc, s0, v2
	s_movk_i32 s0, 0x100
	v_cmp_lt_u32_e64 s[0:1], s0, v2
	s_and_saveexec_b64 s[6:7], s[0:1]
	s_xor_b64 s[0:1], exec, s[6:7]
; %bb.5:
	v_mov_b32_e32 v1, 0
	ds_write_b32 v1, v1 offset:32
                                        ; implicit-def: $vgpr3
                                        ; implicit-def: $vgpr5
                                        ; implicit-def: $vgpr1
; %bb.6:
	s_andn2_saveexec_b64 s[6:7], s[0:1]
	s_cbranch_execz .LBB4_11
; %bb.7:
	v_and_b32_e32 v2, 31, v0
	v_add_u32_e32 v2, v3, v2
	v_cmp_lt_i32_e64 s[0:1], v2, v5
	s_and_saveexec_b64 s[12:13], s[0:1]
	s_cbranch_execz .LBB4_10
; %bb.8:
	v_add_u32_e32 v1, s16, v1
	s_mov_b64 s[14:15], 0
	v_mov_b32_e32 v6, s3
.LBB4_9:                                ; =>This Inner Loop Header: Depth=1
	v_ashrrev_i32_e32 v3, 31, v2
	v_lshlrev_b64 v[7:8], 2, v[2:3]
	v_add_u32_e32 v2, 32, v2
	v_add_co_u32_e64 v7, s[0:1], s2, v7
	v_addc_co_u32_e64 v8, s[0:1], v6, v8, s[0:1]
	v_cmp_ge_i32_e64 s[0:1], v2, v5
	s_or_b64 s[14:15], s[0:1], s[14:15]
	global_store_dword v[7:8], v1, off
	s_andn2_b64 exec, exec, s[14:15]
	s_cbranch_execnz .LBB4_9
.LBB4_10:
	s_or_b64 exec, exec, s[12:13]
.LBB4_11:
	s_or_b64 exec, exec, s[6:7]
	v_cndmask_b32_e64 v1, 0, 1, vcc
	v_lshlrev_b32_e32 v2, 2, v4
	ds_write_b32 v2, v1
	v_mov_b32_e32 v1, 0
	s_waitcnt vmcnt(0) lgkmcnt(0)
	s_barrier
	ds_read_b32 v2, v1 offset:32
	s_waitcnt lgkmcnt(0)
	v_cmp_ne_u32_e32 vcc, 0, v2
	s_cbranch_vccnz .LBB4_83
; %bb.12:
	ds_read_b32 v1, v1
	s_waitcnt lgkmcnt(0)
	v_cmp_ne_u32_e32 vcc, 0, v1
	s_cbranch_vccnz .LBB4_21
; %bb.13:
	s_cmp_lt_i32 s4, s17
	s_cselect_b64 s[0:1], -1, 0
	s_cmp_ge_i32 s4, s17
	v_mov_b32_e32 v3, 0
	v_mov_b32_e32 v1, 0
	s_cbranch_scc0 .LBB4_16
; %bb.14:
	s_andn2_b64 vcc, exec, s[0:1]
	s_cbranch_vccz .LBB4_17
.LBB4_15:
	v_add_u32_e32 v1, v1, v0
	v_cmp_lt_i32_e32 vcc, v1, v3
	s_and_saveexec_b64 s[0:1], vcc
	s_cbranch_execnz .LBB4_18
	s_branch .LBB4_20
.LBB4_16:
	s_ashr_i32 s5, s4, 31
	s_lshl_b64 s[6:7], s[4:5], 2
	s_add_u32 s6, s8, s6
	s_addc_u32 s7, s9, s7
	v_mov_b32_e32 v1, 0
	global_load_dword v1, v1, s[6:7]
	s_waitcnt vmcnt(0)
	v_subrev_u32_e32 v1, s16, v1
	s_andn2_b64 vcc, exec, s[0:1]
	s_cbranch_vccnz .LBB4_15
.LBB4_17:
	s_ashr_i32 s5, s4, 31
	s_lshl_b64 s[0:1], s[4:5], 2
	s_add_u32 s0, s10, s0
	s_addc_u32 s1, s11, s1
	v_mov_b32_e32 v2, 0
	global_load_dword v2, v2, s[0:1]
	s_waitcnt vmcnt(0)
	v_subrev_u32_e32 v3, s16, v2
	v_add_u32_e32 v1, v1, v0
	v_cmp_lt_i32_e32 vcc, v1, v3
	s_and_saveexec_b64 s[0:1], vcc
	s_cbranch_execz .LBB4_20
.LBB4_18:
	s_add_i32 s5, s4, s16
	s_mov_b64 s[6:7], 0
	v_mov_b32_e32 v4, s3
	v_mov_b32_e32 v5, s5
.LBB4_19:                               ; =>This Inner Loop Header: Depth=1
	v_ashrrev_i32_e32 v2, 31, v1
	v_lshlrev_b64 v[6:7], 2, v[1:2]
	v_add_u32_e32 v1, 0x100, v1
	v_add_co_u32_e32 v6, vcc, s2, v6
	v_addc_co_u32_e32 v7, vcc, v4, v7, vcc
	v_cmp_ge_i32_e32 vcc, v1, v3
	s_or_b64 s[6:7], vcc, s[6:7]
	global_store_dword v[6:7], v5, off
	s_andn2_b64 exec, exec, s[6:7]
	s_cbranch_execnz .LBB4_19
.LBB4_20:
	s_or_b64 exec, exec, s[0:1]
.LBB4_21:
	v_mov_b32_e32 v3, 0
	ds_read_b32 v1, v3 offset:4
	s_waitcnt lgkmcnt(0)
	v_cmp_ne_u32_e32 vcc, 0, v1
	s_cbranch_vccz .LBB4_23
; %bb.22:
	ds_read_b32 v1, v3 offset:8
	s_waitcnt lgkmcnt(0)
	v_cmp_ne_u32_e32 vcc, 0, v1
	s_cbranch_vccnz .LBB4_39
	s_branch .LBB4_31
.LBB4_23:
	s_or_b32 s6, s4, 1
	s_cmp_lt_i32 s6, s17
	s_cselect_b64 s[0:1], -1, 0
	s_cmp_ge_i32 s6, s17
	v_mov_b32_e32 v1, 0
	s_cbranch_scc0 .LBB4_26
; %bb.24:
	s_andn2_b64 vcc, exec, s[0:1]
	v_mov_b32_e32 v4, 0
	s_cbranch_vccz .LBB4_27
.LBB4_25:
	v_add_u32_e32 v1, v1, v0
	v_cmp_lt_i32_e32 vcc, v1, v4
	s_and_saveexec_b64 s[0:1], vcc
	s_cbranch_execnz .LBB4_28
	s_branch .LBB4_30
.LBB4_26:
	s_ashr_i32 s5, s4, 31
	s_lshl_b64 s[12:13], s[4:5], 2
	s_add_u32 s12, s8, s12
	s_addc_u32 s13, s9, s13
	v_mov_b32_e32 v1, 0
	global_load_dword v1, v1, s[12:13] offset:4
	s_waitcnt vmcnt(0)
	v_subrev_u32_e32 v1, s16, v1
	s_andn2_b64 vcc, exec, s[0:1]
	v_mov_b32_e32 v4, 0
	s_cbranch_vccnz .LBB4_25
.LBB4_27:
	s_ashr_i32 s5, s4, 31
	s_lshl_b64 s[0:1], s[4:5], 2
	s_add_u32 s0, s10, s0
	s_addc_u32 s1, s11, s1
	v_mov_b32_e32 v2, 0
	global_load_dword v2, v2, s[0:1] offset:4
	s_waitcnt vmcnt(0)
	v_subrev_u32_e32 v4, s16, v2
	v_add_u32_e32 v1, v1, v0
	v_cmp_lt_i32_e32 vcc, v1, v4
	s_and_saveexec_b64 s[0:1], vcc
	s_cbranch_execz .LBB4_30
.LBB4_28:
	s_add_i32 s5, s6, s16
	s_mov_b64 s[6:7], 0
	v_mov_b32_e32 v5, s3
	v_mov_b32_e32 v6, s5
.LBB4_29:                               ; =>This Inner Loop Header: Depth=1
	v_ashrrev_i32_e32 v2, 31, v1
	v_lshlrev_b64 v[7:8], 2, v[1:2]
	v_add_u32_e32 v1, 0x100, v1
	v_add_co_u32_e32 v7, vcc, s2, v7
	v_addc_co_u32_e32 v8, vcc, v5, v8, vcc
	v_cmp_ge_i32_e32 vcc, v1, v4
	s_or_b64 s[6:7], vcc, s[6:7]
	global_store_dword v[7:8], v6, off
	s_andn2_b64 exec, exec, s[6:7]
	s_cbranch_execnz .LBB4_29
.LBB4_30:
	s_or_b64 exec, exec, s[0:1]
	ds_read_b32 v1, v3 offset:8
	s_waitcnt lgkmcnt(0)
	v_cmp_ne_u32_e32 vcc, 0, v1
	s_cbranch_vccnz .LBB4_39
.LBB4_31:
	s_or_b32 s6, s4, 2
	s_cmp_lt_i32 s6, s17
	s_cselect_b64 s[0:1], -1, 0
	s_cmp_ge_i32 s6, s17
	v_mov_b32_e32 v3, 0
	v_mov_b32_e32 v1, 0
	s_cbranch_scc0 .LBB4_34
; %bb.32:
	s_andn2_b64 vcc, exec, s[0:1]
	s_cbranch_vccz .LBB4_35
.LBB4_33:
	v_add_u32_e32 v1, v1, v0
	v_cmp_lt_i32_e32 vcc, v1, v3
	s_and_saveexec_b64 s[0:1], vcc
	s_cbranch_execnz .LBB4_36
	s_branch .LBB4_38
.LBB4_34:
	s_ashr_i32 s5, s4, 31
	s_lshl_b64 s[12:13], s[4:5], 2
	s_add_u32 s12, s8, s12
	s_addc_u32 s13, s9, s13
	v_mov_b32_e32 v1, 0
	global_load_dword v1, v1, s[12:13] offset:8
	s_waitcnt vmcnt(0)
	v_subrev_u32_e32 v1, s16, v1
	s_andn2_b64 vcc, exec, s[0:1]
	s_cbranch_vccnz .LBB4_33
.LBB4_35:
	s_ashr_i32 s5, s4, 31
	s_lshl_b64 s[0:1], s[4:5], 2
	s_add_u32 s0, s10, s0
	s_addc_u32 s1, s11, s1
	v_mov_b32_e32 v2, 0
	global_load_dword v2, v2, s[0:1] offset:8
	s_waitcnt vmcnt(0)
	v_subrev_u32_e32 v3, s16, v2
	v_add_u32_e32 v1, v1, v0
	v_cmp_lt_i32_e32 vcc, v1, v3
	s_and_saveexec_b64 s[0:1], vcc
	s_cbranch_execz .LBB4_38
.LBB4_36:
	s_add_i32 s5, s6, s16
	s_mov_b64 s[6:7], 0
	v_mov_b32_e32 v4, s3
	v_mov_b32_e32 v5, s5
.LBB4_37:                               ; =>This Inner Loop Header: Depth=1
	v_ashrrev_i32_e32 v2, 31, v1
	v_lshlrev_b64 v[6:7], 2, v[1:2]
	v_add_u32_e32 v1, 0x100, v1
	v_add_co_u32_e32 v6, vcc, s2, v6
	v_addc_co_u32_e32 v7, vcc, v4, v7, vcc
	v_cmp_ge_i32_e32 vcc, v1, v3
	s_or_b64 s[6:7], vcc, s[6:7]
	global_store_dword v[6:7], v5, off
	s_andn2_b64 exec, exec, s[6:7]
	s_cbranch_execnz .LBB4_37
.LBB4_38:
	s_or_b64 exec, exec, s[0:1]
.LBB4_39:
	v_mov_b32_e32 v3, 0
	ds_read_b32 v1, v3 offset:12
	s_waitcnt lgkmcnt(0)
	v_cmp_ne_u32_e32 vcc, 0, v1
	s_cbranch_vccz .LBB4_41
; %bb.40:
	ds_read_b32 v1, v3 offset:16
	s_waitcnt lgkmcnt(0)
	v_cmp_ne_u32_e32 vcc, 0, v1
	s_cbranch_vccnz .LBB4_57
	s_branch .LBB4_49
.LBB4_41:
	s_or_b32 s6, s4, 3
	s_cmp_lt_i32 s6, s17
	s_cselect_b64 s[0:1], -1, 0
	s_cmp_ge_i32 s6, s17
	v_mov_b32_e32 v1, 0
	s_cbranch_scc0 .LBB4_44
; %bb.42:
	s_andn2_b64 vcc, exec, s[0:1]
	v_mov_b32_e32 v4, 0
	s_cbranch_vccz .LBB4_45
.LBB4_43:
	v_add_u32_e32 v1, v1, v0
	v_cmp_lt_i32_e32 vcc, v1, v4
	s_and_saveexec_b64 s[0:1], vcc
	s_cbranch_execnz .LBB4_46
	s_branch .LBB4_48
.LBB4_44:
	s_ashr_i32 s5, s4, 31
	s_lshl_b64 s[12:13], s[4:5], 2
	s_add_u32 s12, s8, s12
	s_addc_u32 s13, s9, s13
	v_mov_b32_e32 v1, 0
	global_load_dword v1, v1, s[12:13] offset:12
	s_waitcnt vmcnt(0)
	v_subrev_u32_e32 v1, s16, v1
	s_andn2_b64 vcc, exec, s[0:1]
	v_mov_b32_e32 v4, 0
	s_cbranch_vccnz .LBB4_43
.LBB4_45:
	s_ashr_i32 s5, s4, 31
	s_lshl_b64 s[0:1], s[4:5], 2
	s_add_u32 s0, s10, s0
	s_addc_u32 s1, s11, s1
	v_mov_b32_e32 v2, 0
	global_load_dword v2, v2, s[0:1] offset:12
	s_waitcnt vmcnt(0)
	v_subrev_u32_e32 v4, s16, v2
	v_add_u32_e32 v1, v1, v0
	v_cmp_lt_i32_e32 vcc, v1, v4
	s_and_saveexec_b64 s[0:1], vcc
	s_cbranch_execz .LBB4_48
.LBB4_46:
	s_add_i32 s5, s6, s16
	s_mov_b64 s[6:7], 0
	v_mov_b32_e32 v5, s3
	v_mov_b32_e32 v6, s5
.LBB4_47:                               ; =>This Inner Loop Header: Depth=1
	v_ashrrev_i32_e32 v2, 31, v1
	v_lshlrev_b64 v[7:8], 2, v[1:2]
	v_add_u32_e32 v1, 0x100, v1
	v_add_co_u32_e32 v7, vcc, s2, v7
	v_addc_co_u32_e32 v8, vcc, v5, v8, vcc
	v_cmp_ge_i32_e32 vcc, v1, v4
	s_or_b64 s[6:7], vcc, s[6:7]
	global_store_dword v[7:8], v6, off
	s_andn2_b64 exec, exec, s[6:7]
	s_cbranch_execnz .LBB4_47
.LBB4_48:
	s_or_b64 exec, exec, s[0:1]
	ds_read_b32 v1, v3 offset:16
	s_waitcnt lgkmcnt(0)
	v_cmp_ne_u32_e32 vcc, 0, v1
	s_cbranch_vccnz .LBB4_57
.LBB4_49:
	s_or_b32 s6, s4, 4
	s_cmp_lt_i32 s6, s17
	s_cselect_b64 s[0:1], -1, 0
	s_cmp_ge_i32 s6, s17
	v_mov_b32_e32 v3, 0
	v_mov_b32_e32 v1, 0
	s_cbranch_scc0 .LBB4_52
; %bb.50:
	s_andn2_b64 vcc, exec, s[0:1]
	s_cbranch_vccz .LBB4_53
.LBB4_51:
	v_add_u32_e32 v1, v1, v0
	v_cmp_lt_i32_e32 vcc, v1, v3
	s_and_saveexec_b64 s[0:1], vcc
	s_cbranch_execnz .LBB4_54
	s_branch .LBB4_56
.LBB4_52:
	s_ashr_i32 s5, s4, 31
	s_lshl_b64 s[12:13], s[4:5], 2
	s_add_u32 s12, s8, s12
	s_addc_u32 s13, s9, s13
	v_mov_b32_e32 v1, 0
	global_load_dword v1, v1, s[12:13] offset:16
	s_waitcnt vmcnt(0)
	v_subrev_u32_e32 v1, s16, v1
	s_andn2_b64 vcc, exec, s[0:1]
	s_cbranch_vccnz .LBB4_51
.LBB4_53:
	s_ashr_i32 s5, s4, 31
	s_lshl_b64 s[0:1], s[4:5], 2
	s_add_u32 s0, s10, s0
	s_addc_u32 s1, s11, s1
	v_mov_b32_e32 v2, 0
	global_load_dword v2, v2, s[0:1] offset:16
	s_waitcnt vmcnt(0)
	v_subrev_u32_e32 v3, s16, v2
	v_add_u32_e32 v1, v1, v0
	v_cmp_lt_i32_e32 vcc, v1, v3
	s_and_saveexec_b64 s[0:1], vcc
	s_cbranch_execz .LBB4_56
.LBB4_54:
	s_add_i32 s5, s6, s16
	s_mov_b64 s[6:7], 0
	v_mov_b32_e32 v4, s3
	v_mov_b32_e32 v5, s5
.LBB4_55:                               ; =>This Inner Loop Header: Depth=1
	v_ashrrev_i32_e32 v2, 31, v1
	v_lshlrev_b64 v[6:7], 2, v[1:2]
	v_add_u32_e32 v1, 0x100, v1
	v_add_co_u32_e32 v6, vcc, s2, v6
	v_addc_co_u32_e32 v7, vcc, v4, v7, vcc
	v_cmp_ge_i32_e32 vcc, v1, v3
	s_or_b64 s[6:7], vcc, s[6:7]
	global_store_dword v[6:7], v5, off
	s_andn2_b64 exec, exec, s[6:7]
	s_cbranch_execnz .LBB4_55
.LBB4_56:
	s_or_b64 exec, exec, s[0:1]
.LBB4_57:
	v_mov_b32_e32 v3, 0
	ds_read_b32 v1, v3 offset:20
	s_waitcnt lgkmcnt(0)
	v_cmp_ne_u32_e32 vcc, 0, v1
	s_cbranch_vccz .LBB4_59
; %bb.58:
	ds_read_b32 v1, v3 offset:24
	s_waitcnt lgkmcnt(0)
	v_cmp_ne_u32_e32 vcc, 0, v1
	s_cbranch_vccnz .LBB4_75
	s_branch .LBB4_67
.LBB4_59:
	s_or_b32 s6, s4, 5
	s_cmp_lt_i32 s6, s17
	s_cselect_b64 s[0:1], -1, 0
	s_cmp_ge_i32 s6, s17
	v_mov_b32_e32 v1, 0
	s_cbranch_scc0 .LBB4_62
; %bb.60:
	s_andn2_b64 vcc, exec, s[0:1]
	v_mov_b32_e32 v4, 0
	s_cbranch_vccz .LBB4_63
.LBB4_61:
	v_add_u32_e32 v1, v1, v0
	v_cmp_lt_i32_e32 vcc, v1, v4
	s_and_saveexec_b64 s[0:1], vcc
	s_cbranch_execnz .LBB4_64
	s_branch .LBB4_66
.LBB4_62:
	s_ashr_i32 s5, s4, 31
	s_lshl_b64 s[12:13], s[4:5], 2
	s_add_u32 s12, s8, s12
	s_addc_u32 s13, s9, s13
	v_mov_b32_e32 v1, 0
	global_load_dword v1, v1, s[12:13] offset:20
	s_waitcnt vmcnt(0)
	v_subrev_u32_e32 v1, s16, v1
	s_andn2_b64 vcc, exec, s[0:1]
	v_mov_b32_e32 v4, 0
	s_cbranch_vccnz .LBB4_61
.LBB4_63:
	s_ashr_i32 s5, s4, 31
	s_lshl_b64 s[0:1], s[4:5], 2
	s_add_u32 s0, s10, s0
	s_addc_u32 s1, s11, s1
	v_mov_b32_e32 v2, 0
	global_load_dword v2, v2, s[0:1] offset:20
	s_waitcnt vmcnt(0)
	v_subrev_u32_e32 v4, s16, v2
	v_add_u32_e32 v1, v1, v0
	v_cmp_lt_i32_e32 vcc, v1, v4
	s_and_saveexec_b64 s[0:1], vcc
	s_cbranch_execz .LBB4_66
.LBB4_64:
	s_add_i32 s5, s6, s16
	s_mov_b64 s[6:7], 0
	v_mov_b32_e32 v5, s3
	v_mov_b32_e32 v6, s5
.LBB4_65:                               ; =>This Inner Loop Header: Depth=1
	v_ashrrev_i32_e32 v2, 31, v1
	v_lshlrev_b64 v[7:8], 2, v[1:2]
	v_add_u32_e32 v1, 0x100, v1
	v_add_co_u32_e32 v7, vcc, s2, v7
	v_addc_co_u32_e32 v8, vcc, v5, v8, vcc
	v_cmp_ge_i32_e32 vcc, v1, v4
	s_or_b64 s[6:7], vcc, s[6:7]
	global_store_dword v[7:8], v6, off
	s_andn2_b64 exec, exec, s[6:7]
	s_cbranch_execnz .LBB4_65
.LBB4_66:
	s_or_b64 exec, exec, s[0:1]
	ds_read_b32 v1, v3 offset:24
	s_waitcnt lgkmcnt(0)
	v_cmp_ne_u32_e32 vcc, 0, v1
	s_cbranch_vccnz .LBB4_75
.LBB4_67:
	s_or_b32 s6, s4, 6
	s_cmp_lt_i32 s6, s17
	s_cselect_b64 s[0:1], -1, 0
	s_cmp_ge_i32 s6, s17
	v_mov_b32_e32 v3, 0
	v_mov_b32_e32 v1, 0
	s_cbranch_scc0 .LBB4_70
; %bb.68:
	s_andn2_b64 vcc, exec, s[0:1]
	s_cbranch_vccz .LBB4_71
.LBB4_69:
	v_add_u32_e32 v1, v1, v0
	v_cmp_lt_i32_e32 vcc, v1, v3
	s_and_saveexec_b64 s[0:1], vcc
	s_cbranch_execnz .LBB4_72
	s_branch .LBB4_74
.LBB4_70:
	s_ashr_i32 s5, s4, 31
	s_lshl_b64 s[12:13], s[4:5], 2
	s_add_u32 s12, s8, s12
	s_addc_u32 s13, s9, s13
	v_mov_b32_e32 v1, 0
	global_load_dword v1, v1, s[12:13] offset:24
	s_waitcnt vmcnt(0)
	v_subrev_u32_e32 v1, s16, v1
	s_andn2_b64 vcc, exec, s[0:1]
	s_cbranch_vccnz .LBB4_69
.LBB4_71:
	s_ashr_i32 s5, s4, 31
	s_lshl_b64 s[0:1], s[4:5], 2
	s_add_u32 s0, s10, s0
	s_addc_u32 s1, s11, s1
	v_mov_b32_e32 v2, 0
	global_load_dword v2, v2, s[0:1] offset:24
	s_waitcnt vmcnt(0)
	v_subrev_u32_e32 v3, s16, v2
	v_add_u32_e32 v1, v1, v0
	v_cmp_lt_i32_e32 vcc, v1, v3
	s_and_saveexec_b64 s[0:1], vcc
	s_cbranch_execz .LBB4_74
.LBB4_72:
	s_add_i32 s5, s6, s16
	s_mov_b64 s[6:7], 0
	v_mov_b32_e32 v4, s3
	v_mov_b32_e32 v5, s5
.LBB4_73:                               ; =>This Inner Loop Header: Depth=1
	v_ashrrev_i32_e32 v2, 31, v1
	v_lshlrev_b64 v[6:7], 2, v[1:2]
	v_add_u32_e32 v1, 0x100, v1
	v_add_co_u32_e32 v6, vcc, s2, v6
	v_addc_co_u32_e32 v7, vcc, v4, v7, vcc
	v_cmp_ge_i32_e32 vcc, v1, v3
	s_or_b64 s[6:7], vcc, s[6:7]
	global_store_dword v[6:7], v5, off
	s_andn2_b64 exec, exec, s[6:7]
	s_cbranch_execnz .LBB4_73
.LBB4_74:
	s_or_b64 exec, exec, s[0:1]
.LBB4_75:
	v_mov_b32_e32 v1, 0
	ds_read_b32 v2, v1 offset:28
	s_waitcnt lgkmcnt(0)
	v_cmp_ne_u32_e32 vcc, 0, v2
	s_cbranch_vccnz .LBB4_83
; %bb.76:
	s_or_b32 s6, s4, 7
	s_cmp_lt_i32 s6, s17
	s_cselect_b64 s[0:1], -1, 0
	s_cmp_ge_i32 s6, s17
	s_cbranch_scc0 .LBB4_79
; %bb.77:
	s_andn2_b64 vcc, exec, s[0:1]
	v_mov_b32_e32 v2, 0
	s_cbranch_vccz .LBB4_80
.LBB4_78:
	v_add_u32_e32 v0, v1, v0
	v_cmp_lt_i32_e32 vcc, v0, v2
	s_and_saveexec_b64 s[0:1], vcc
	s_cbranch_execnz .LBB4_81
	s_branch .LBB4_83
.LBB4_79:
	s_ashr_i32 s5, s4, 31
	s_lshl_b64 s[12:13], s[4:5], 2
	s_add_u32 s8, s8, s12
	s_addc_u32 s9, s9, s13
	v_mov_b32_e32 v1, 0
	global_load_dword v1, v1, s[8:9] offset:28
	s_waitcnt vmcnt(0)
	v_subrev_u32_e32 v1, s16, v1
	s_andn2_b64 vcc, exec, s[0:1]
	v_mov_b32_e32 v2, 0
	s_cbranch_vccnz .LBB4_78
.LBB4_80:
	s_ashr_i32 s5, s4, 31
	s_lshl_b64 s[0:1], s[4:5], 2
	s_add_u32 s0, s10, s0
	s_addc_u32 s1, s11, s1
	v_mov_b32_e32 v2, 0
	global_load_dword v2, v2, s[0:1] offset:28
	s_waitcnt vmcnt(0)
	v_subrev_u32_e32 v2, s16, v2
	v_add_u32_e32 v0, v1, v0
	v_cmp_lt_i32_e32 vcc, v0, v2
	s_and_saveexec_b64 s[0:1], vcc
	s_cbranch_execz .LBB4_83
.LBB4_81:
	s_add_i32 s4, s6, s16
	s_mov_b64 s[0:1], 0
	v_mov_b32_e32 v3, s3
	v_mov_b32_e32 v4, s4
.LBB4_82:                               ; =>This Inner Loop Header: Depth=1
	v_ashrrev_i32_e32 v1, 31, v0
	v_lshlrev_b64 v[5:6], 2, v[0:1]
	v_add_u32_e32 v0, 0x100, v0
	v_add_co_u32_e32 v5, vcc, s2, v5
	v_addc_co_u32_e32 v6, vcc, v3, v6, vcc
	v_cmp_ge_i32_e32 vcc, v0, v2
	s_or_b64 s[0:1], vcc, s[0:1]
	global_store_dword v[5:6], v4, off
	s_andn2_b64 exec, exec, s[0:1]
	s_cbranch_execnz .LBB4_82
.LBB4_83:
	s_endpgm
	.section	.rodata,"a",@progbits
	.p2align	6, 0x0
	.amdhsa_kernel _ZN9rocsparseL14csr2coo_kernelILj256ELj32EiiEEvT2_PKT1_S4_PS1_21rocsparse_index_base_
		.amdhsa_group_segment_fixed_size 36
		.amdhsa_private_segment_fixed_size 0
		.amdhsa_kernarg_size 36
		.amdhsa_user_sgpr_count 6
		.amdhsa_user_sgpr_private_segment_buffer 1
		.amdhsa_user_sgpr_dispatch_ptr 0
		.amdhsa_user_sgpr_queue_ptr 0
		.amdhsa_user_sgpr_kernarg_segment_ptr 1
		.amdhsa_user_sgpr_dispatch_id 0
		.amdhsa_user_sgpr_flat_scratch_init 0
		.amdhsa_user_sgpr_private_segment_size 0
		.amdhsa_uses_dynamic_stack 0
		.amdhsa_system_sgpr_private_segment_wavefront_offset 0
		.amdhsa_system_sgpr_workgroup_id_x 1
		.amdhsa_system_sgpr_workgroup_id_y 0
		.amdhsa_system_sgpr_workgroup_id_z 0
		.amdhsa_system_sgpr_workgroup_info 0
		.amdhsa_system_vgpr_workitem_id 0
		.amdhsa_next_free_vgpr 9
		.amdhsa_next_free_sgpr 18
		.amdhsa_reserve_vcc 1
		.amdhsa_reserve_flat_scratch 0
		.amdhsa_float_round_mode_32 0
		.amdhsa_float_round_mode_16_64 0
		.amdhsa_float_denorm_mode_32 3
		.amdhsa_float_denorm_mode_16_64 3
		.amdhsa_dx10_clamp 1
		.amdhsa_ieee_mode 1
		.amdhsa_fp16_overflow 0
		.amdhsa_exception_fp_ieee_invalid_op 0
		.amdhsa_exception_fp_denorm_src 0
		.amdhsa_exception_fp_ieee_div_zero 0
		.amdhsa_exception_fp_ieee_overflow 0
		.amdhsa_exception_fp_ieee_underflow 0
		.amdhsa_exception_fp_ieee_inexact 0
		.amdhsa_exception_int_div_zero 0
	.end_amdhsa_kernel
	.section	.text._ZN9rocsparseL14csr2coo_kernelILj256ELj32EiiEEvT2_PKT1_S4_PS1_21rocsparse_index_base_,"axG",@progbits,_ZN9rocsparseL14csr2coo_kernelILj256ELj32EiiEEvT2_PKT1_S4_PS1_21rocsparse_index_base_,comdat
.Lfunc_end4:
	.size	_ZN9rocsparseL14csr2coo_kernelILj256ELj32EiiEEvT2_PKT1_S4_PS1_21rocsparse_index_base_, .Lfunc_end4-_ZN9rocsparseL14csr2coo_kernelILj256ELj32EiiEEvT2_PKT1_S4_PS1_21rocsparse_index_base_
                                        ; -- End function
	.set _ZN9rocsparseL14csr2coo_kernelILj256ELj32EiiEEvT2_PKT1_S4_PS1_21rocsparse_index_base_.num_vgpr, 9
	.set _ZN9rocsparseL14csr2coo_kernelILj256ELj32EiiEEvT2_PKT1_S4_PS1_21rocsparse_index_base_.num_agpr, 0
	.set _ZN9rocsparseL14csr2coo_kernelILj256ELj32EiiEEvT2_PKT1_S4_PS1_21rocsparse_index_base_.numbered_sgpr, 18
	.set _ZN9rocsparseL14csr2coo_kernelILj256ELj32EiiEEvT2_PKT1_S4_PS1_21rocsparse_index_base_.num_named_barrier, 0
	.set _ZN9rocsparseL14csr2coo_kernelILj256ELj32EiiEEvT2_PKT1_S4_PS1_21rocsparse_index_base_.private_seg_size, 0
	.set _ZN9rocsparseL14csr2coo_kernelILj256ELj32EiiEEvT2_PKT1_S4_PS1_21rocsparse_index_base_.uses_vcc, 1
	.set _ZN9rocsparseL14csr2coo_kernelILj256ELj32EiiEEvT2_PKT1_S4_PS1_21rocsparse_index_base_.uses_flat_scratch, 0
	.set _ZN9rocsparseL14csr2coo_kernelILj256ELj32EiiEEvT2_PKT1_S4_PS1_21rocsparse_index_base_.has_dyn_sized_stack, 0
	.set _ZN9rocsparseL14csr2coo_kernelILj256ELj32EiiEEvT2_PKT1_S4_PS1_21rocsparse_index_base_.has_recursion, 0
	.set _ZN9rocsparseL14csr2coo_kernelILj256ELj32EiiEEvT2_PKT1_S4_PS1_21rocsparse_index_base_.has_indirect_call, 0
	.section	.AMDGPU.csdata,"",@progbits
; Kernel info:
; codeLenInByte = 2440
; TotalNumSgprs: 22
; NumVgprs: 9
; ScratchSize: 0
; MemoryBound: 0
; FloatMode: 240
; IeeeMode: 1
; LDSByteSize: 36 bytes/workgroup (compile time only)
; SGPRBlocks: 2
; VGPRBlocks: 2
; NumSGPRsForWavesPerEU: 22
; NumVGPRsForWavesPerEU: 9
; Occupancy: 10
; WaveLimiterHint : 0
; COMPUTE_PGM_RSRC2:SCRATCH_EN: 0
; COMPUTE_PGM_RSRC2:USER_SGPR: 6
; COMPUTE_PGM_RSRC2:TRAP_HANDLER: 0
; COMPUTE_PGM_RSRC2:TGID_X_EN: 1
; COMPUTE_PGM_RSRC2:TGID_Y_EN: 0
; COMPUTE_PGM_RSRC2:TGID_Z_EN: 0
; COMPUTE_PGM_RSRC2:TIDIG_COMP_CNT: 0
	.section	.text._ZN9rocsparseL14csr2coo_kernelILj256ELj64EiiEEvT2_PKT1_S4_PS1_21rocsparse_index_base_,"axG",@progbits,_ZN9rocsparseL14csr2coo_kernelILj256ELj64EiiEEvT2_PKT1_S4_PS1_21rocsparse_index_base_,comdat
	.globl	_ZN9rocsparseL14csr2coo_kernelILj256ELj64EiiEEvT2_PKT1_S4_PS1_21rocsparse_index_base_ ; -- Begin function _ZN9rocsparseL14csr2coo_kernelILj256ELj64EiiEEvT2_PKT1_S4_PS1_21rocsparse_index_base_
	.p2align	8
	.type	_ZN9rocsparseL14csr2coo_kernelILj256ELj64EiiEEvT2_PKT1_S4_PS1_21rocsparse_index_base_,@function
_ZN9rocsparseL14csr2coo_kernelILj256ELj64EiiEEvT2_PKT1_S4_PS1_21rocsparse_index_base_: ; @_ZN9rocsparseL14csr2coo_kernelILj256ELj64EiiEEvT2_PKT1_S4_PS1_21rocsparse_index_base_
; %bb.0:
	s_load_dword s17, s[4:5], 0x0
	s_load_dwordx4 s[8:11], s[4:5], 0x8
	s_load_dwordx2 s[2:3], s[4:5], 0x18
	s_load_dword s16, s[4:5], 0x20
	v_lshrrev_b32_e32 v4, 6, v0
	v_mov_b32_e32 v1, 1
	v_mov_b32_e32 v5, 0
	s_lshl_b32 s4, s6, 2
	ds_write_b32 v5, v1 offset:16
	v_or_b32_e32 v1, s4, v4
	s_waitcnt lgkmcnt(0)
	v_cmp_gt_i32_e32 vcc, s17, v1
	v_ashrrev_i32_e32 v2, 31, v1
	v_mov_b32_e32 v3, 0
	s_barrier
	s_and_saveexec_b64 s[6:7], vcc
	s_cbranch_execz .LBB5_2
; %bb.1:
	v_lshlrev_b64 v[6:7], 2, v[1:2]
	v_mov_b32_e32 v3, s9
	v_add_co_u32_e64 v6, s[0:1], s8, v6
	v_addc_co_u32_e64 v7, s[0:1], v3, v7, s[0:1]
	global_load_dword v3, v[6:7], off
	s_waitcnt vmcnt(0)
	v_subrev_u32_e32 v3, s16, v3
.LBB5_2:
	s_or_b64 exec, exec, s[6:7]
	s_and_saveexec_b64 s[0:1], vcc
	s_cbranch_execz .LBB5_4
; %bb.3:
	v_lshlrev_b64 v[5:6], 2, v[1:2]
	v_mov_b32_e32 v2, s11
	v_add_co_u32_e32 v5, vcc, s10, v5
	v_addc_co_u32_e32 v6, vcc, v2, v6, vcc
	global_load_dword v2, v[5:6], off
	s_waitcnt vmcnt(0)
	v_subrev_u32_e32 v5, s16, v2
.LBB5_4:
	s_or_b64 exec, exec, s[0:1]
	v_sub_u32_e32 v2, v5, v3
	s_movk_i32 s0, 0x201
	v_cmp_gt_u32_e32 vcc, s0, v2
	s_movk_i32 s0, 0x200
	v_cmp_lt_u32_e64 s[0:1], s0, v2
	s_and_saveexec_b64 s[6:7], s[0:1]
	s_xor_b64 s[0:1], exec, s[6:7]
; %bb.5:
	v_mov_b32_e32 v1, 0
	ds_write_b32 v1, v1 offset:16
                                        ; implicit-def: $vgpr3
                                        ; implicit-def: $vgpr5
                                        ; implicit-def: $vgpr1
; %bb.6:
	s_andn2_saveexec_b64 s[6:7], s[0:1]
	s_cbranch_execz .LBB5_11
; %bb.7:
	v_and_b32_e32 v2, 63, v0
	v_add_u32_e32 v2, v3, v2
	v_cmp_lt_i32_e64 s[0:1], v2, v5
	s_and_saveexec_b64 s[12:13], s[0:1]
	s_cbranch_execz .LBB5_10
; %bb.8:
	v_add_u32_e32 v1, s16, v1
	s_mov_b64 s[14:15], 0
	v_mov_b32_e32 v6, s3
.LBB5_9:                                ; =>This Inner Loop Header: Depth=1
	v_ashrrev_i32_e32 v3, 31, v2
	v_lshlrev_b64 v[7:8], 2, v[2:3]
	v_add_u32_e32 v2, 64, v2
	v_add_co_u32_e64 v7, s[0:1], s2, v7
	v_addc_co_u32_e64 v8, s[0:1], v6, v8, s[0:1]
	v_cmp_ge_i32_e64 s[0:1], v2, v5
	s_or_b64 s[14:15], s[0:1], s[14:15]
	global_store_dword v[7:8], v1, off
	s_andn2_b64 exec, exec, s[14:15]
	s_cbranch_execnz .LBB5_9
.LBB5_10:
	s_or_b64 exec, exec, s[12:13]
.LBB5_11:
	s_or_b64 exec, exec, s[6:7]
	v_cndmask_b32_e64 v1, 0, 1, vcc
	v_lshlrev_b32_e32 v2, 2, v4
	ds_write_b32 v2, v1
	v_mov_b32_e32 v1, 0
	s_waitcnt vmcnt(0) lgkmcnt(0)
	s_barrier
	ds_read_b32 v2, v1 offset:16
	s_waitcnt lgkmcnt(0)
	v_cmp_ne_u32_e32 vcc, 0, v2
	s_cbranch_vccnz .LBB5_47
; %bb.12:
	ds_read_b32 v1, v1
	s_waitcnt lgkmcnt(0)
	v_cmp_ne_u32_e32 vcc, 0, v1
	s_cbranch_vccnz .LBB5_21
; %bb.13:
	s_cmp_lt_i32 s4, s17
	s_cselect_b64 s[0:1], -1, 0
	s_cmp_ge_i32 s4, s17
	v_mov_b32_e32 v3, 0
	v_mov_b32_e32 v1, 0
	s_cbranch_scc0 .LBB5_16
; %bb.14:
	s_andn2_b64 vcc, exec, s[0:1]
	s_cbranch_vccz .LBB5_17
.LBB5_15:
	v_add_u32_e32 v1, v1, v0
	v_cmp_lt_i32_e32 vcc, v1, v3
	s_and_saveexec_b64 s[0:1], vcc
	s_cbranch_execnz .LBB5_18
	s_branch .LBB5_20
.LBB5_16:
	s_ashr_i32 s5, s4, 31
	s_lshl_b64 s[6:7], s[4:5], 2
	s_add_u32 s6, s8, s6
	s_addc_u32 s7, s9, s7
	v_mov_b32_e32 v1, 0
	global_load_dword v1, v1, s[6:7]
	s_waitcnt vmcnt(0)
	v_subrev_u32_e32 v1, s16, v1
	s_andn2_b64 vcc, exec, s[0:1]
	s_cbranch_vccnz .LBB5_15
.LBB5_17:
	s_ashr_i32 s5, s4, 31
	s_lshl_b64 s[0:1], s[4:5], 2
	s_add_u32 s0, s10, s0
	s_addc_u32 s1, s11, s1
	v_mov_b32_e32 v2, 0
	global_load_dword v2, v2, s[0:1]
	s_waitcnt vmcnt(0)
	v_subrev_u32_e32 v3, s16, v2
	v_add_u32_e32 v1, v1, v0
	v_cmp_lt_i32_e32 vcc, v1, v3
	s_and_saveexec_b64 s[0:1], vcc
	s_cbranch_execz .LBB5_20
.LBB5_18:
	s_add_i32 s5, s4, s16
	s_mov_b64 s[6:7], 0
	v_mov_b32_e32 v4, s3
	v_mov_b32_e32 v5, s5
.LBB5_19:                               ; =>This Inner Loop Header: Depth=1
	v_ashrrev_i32_e32 v2, 31, v1
	v_lshlrev_b64 v[6:7], 2, v[1:2]
	v_add_u32_e32 v1, 0x100, v1
	v_add_co_u32_e32 v6, vcc, s2, v6
	v_addc_co_u32_e32 v7, vcc, v4, v7, vcc
	v_cmp_ge_i32_e32 vcc, v1, v3
	s_or_b64 s[6:7], vcc, s[6:7]
	global_store_dword v[6:7], v5, off
	s_andn2_b64 exec, exec, s[6:7]
	s_cbranch_execnz .LBB5_19
.LBB5_20:
	s_or_b64 exec, exec, s[0:1]
.LBB5_21:
	v_mov_b32_e32 v3, 0
	ds_read_b32 v1, v3 offset:4
	s_waitcnt lgkmcnt(0)
	v_cmp_ne_u32_e32 vcc, 0, v1
	s_cbranch_vccz .LBB5_23
; %bb.22:
	ds_read_b32 v1, v3 offset:8
	s_waitcnt lgkmcnt(0)
	v_cmp_ne_u32_e32 vcc, 0, v1
	s_cbranch_vccnz .LBB5_39
	s_branch .LBB5_31
.LBB5_23:
	s_or_b32 s6, s4, 1
	s_cmp_lt_i32 s6, s17
	s_cselect_b64 s[0:1], -1, 0
	s_cmp_ge_i32 s6, s17
	v_mov_b32_e32 v1, 0
	s_cbranch_scc0 .LBB5_26
; %bb.24:
	s_andn2_b64 vcc, exec, s[0:1]
	v_mov_b32_e32 v4, 0
	s_cbranch_vccz .LBB5_27
.LBB5_25:
	v_add_u32_e32 v1, v1, v0
	v_cmp_lt_i32_e32 vcc, v1, v4
	s_and_saveexec_b64 s[0:1], vcc
	s_cbranch_execnz .LBB5_28
	s_branch .LBB5_30
.LBB5_26:
	s_ashr_i32 s5, s4, 31
	s_lshl_b64 s[12:13], s[4:5], 2
	s_add_u32 s12, s8, s12
	s_addc_u32 s13, s9, s13
	v_mov_b32_e32 v1, 0
	global_load_dword v1, v1, s[12:13] offset:4
	s_waitcnt vmcnt(0)
	v_subrev_u32_e32 v1, s16, v1
	s_andn2_b64 vcc, exec, s[0:1]
	v_mov_b32_e32 v4, 0
	s_cbranch_vccnz .LBB5_25
.LBB5_27:
	s_ashr_i32 s5, s4, 31
	s_lshl_b64 s[0:1], s[4:5], 2
	s_add_u32 s0, s10, s0
	s_addc_u32 s1, s11, s1
	v_mov_b32_e32 v2, 0
	global_load_dword v2, v2, s[0:1] offset:4
	s_waitcnt vmcnt(0)
	v_subrev_u32_e32 v4, s16, v2
	v_add_u32_e32 v1, v1, v0
	v_cmp_lt_i32_e32 vcc, v1, v4
	s_and_saveexec_b64 s[0:1], vcc
	s_cbranch_execz .LBB5_30
.LBB5_28:
	s_add_i32 s5, s6, s16
	s_mov_b64 s[6:7], 0
	v_mov_b32_e32 v5, s3
	v_mov_b32_e32 v6, s5
.LBB5_29:                               ; =>This Inner Loop Header: Depth=1
	v_ashrrev_i32_e32 v2, 31, v1
	v_lshlrev_b64 v[7:8], 2, v[1:2]
	v_add_u32_e32 v1, 0x100, v1
	v_add_co_u32_e32 v7, vcc, s2, v7
	v_addc_co_u32_e32 v8, vcc, v5, v8, vcc
	v_cmp_ge_i32_e32 vcc, v1, v4
	s_or_b64 s[6:7], vcc, s[6:7]
	global_store_dword v[7:8], v6, off
	s_andn2_b64 exec, exec, s[6:7]
	s_cbranch_execnz .LBB5_29
.LBB5_30:
	s_or_b64 exec, exec, s[0:1]
	ds_read_b32 v1, v3 offset:8
	s_waitcnt lgkmcnt(0)
	v_cmp_ne_u32_e32 vcc, 0, v1
	s_cbranch_vccnz .LBB5_39
.LBB5_31:
	s_or_b32 s6, s4, 2
	s_cmp_lt_i32 s6, s17
	s_cselect_b64 s[0:1], -1, 0
	s_cmp_ge_i32 s6, s17
	v_mov_b32_e32 v3, 0
	v_mov_b32_e32 v1, 0
	s_cbranch_scc0 .LBB5_34
; %bb.32:
	s_andn2_b64 vcc, exec, s[0:1]
	s_cbranch_vccz .LBB5_35
.LBB5_33:
	v_add_u32_e32 v1, v1, v0
	v_cmp_lt_i32_e32 vcc, v1, v3
	s_and_saveexec_b64 s[0:1], vcc
	s_cbranch_execnz .LBB5_36
	s_branch .LBB5_38
.LBB5_34:
	s_ashr_i32 s5, s4, 31
	s_lshl_b64 s[12:13], s[4:5], 2
	s_add_u32 s12, s8, s12
	s_addc_u32 s13, s9, s13
	v_mov_b32_e32 v1, 0
	global_load_dword v1, v1, s[12:13] offset:8
	s_waitcnt vmcnt(0)
	v_subrev_u32_e32 v1, s16, v1
	s_andn2_b64 vcc, exec, s[0:1]
	s_cbranch_vccnz .LBB5_33
.LBB5_35:
	s_ashr_i32 s5, s4, 31
	s_lshl_b64 s[0:1], s[4:5], 2
	s_add_u32 s0, s10, s0
	s_addc_u32 s1, s11, s1
	v_mov_b32_e32 v2, 0
	global_load_dword v2, v2, s[0:1] offset:8
	s_waitcnt vmcnt(0)
	v_subrev_u32_e32 v3, s16, v2
	v_add_u32_e32 v1, v1, v0
	v_cmp_lt_i32_e32 vcc, v1, v3
	s_and_saveexec_b64 s[0:1], vcc
	s_cbranch_execz .LBB5_38
.LBB5_36:
	s_add_i32 s5, s6, s16
	s_mov_b64 s[6:7], 0
	v_mov_b32_e32 v4, s3
	v_mov_b32_e32 v5, s5
.LBB5_37:                               ; =>This Inner Loop Header: Depth=1
	v_ashrrev_i32_e32 v2, 31, v1
	v_lshlrev_b64 v[6:7], 2, v[1:2]
	v_add_u32_e32 v1, 0x100, v1
	v_add_co_u32_e32 v6, vcc, s2, v6
	v_addc_co_u32_e32 v7, vcc, v4, v7, vcc
	v_cmp_ge_i32_e32 vcc, v1, v3
	s_or_b64 s[6:7], vcc, s[6:7]
	global_store_dword v[6:7], v5, off
	s_andn2_b64 exec, exec, s[6:7]
	s_cbranch_execnz .LBB5_37
.LBB5_38:
	s_or_b64 exec, exec, s[0:1]
.LBB5_39:
	v_mov_b32_e32 v1, 0
	ds_read_b32 v2, v1 offset:12
	s_waitcnt lgkmcnt(0)
	v_cmp_ne_u32_e32 vcc, 0, v2
	s_cbranch_vccnz .LBB5_47
; %bb.40:
	s_or_b32 s6, s4, 3
	s_cmp_lt_i32 s6, s17
	s_cselect_b64 s[0:1], -1, 0
	s_cmp_ge_i32 s6, s17
	s_cbranch_scc0 .LBB5_43
; %bb.41:
	s_andn2_b64 vcc, exec, s[0:1]
	v_mov_b32_e32 v2, 0
	s_cbranch_vccz .LBB5_44
.LBB5_42:
	v_add_u32_e32 v0, v1, v0
	v_cmp_lt_i32_e32 vcc, v0, v2
	s_and_saveexec_b64 s[0:1], vcc
	s_cbranch_execnz .LBB5_45
	s_branch .LBB5_47
.LBB5_43:
	s_ashr_i32 s5, s4, 31
	s_lshl_b64 s[12:13], s[4:5], 2
	s_add_u32 s8, s8, s12
	s_addc_u32 s9, s9, s13
	v_mov_b32_e32 v1, 0
	global_load_dword v1, v1, s[8:9] offset:12
	s_waitcnt vmcnt(0)
	v_subrev_u32_e32 v1, s16, v1
	s_andn2_b64 vcc, exec, s[0:1]
	v_mov_b32_e32 v2, 0
	s_cbranch_vccnz .LBB5_42
.LBB5_44:
	s_ashr_i32 s5, s4, 31
	s_lshl_b64 s[0:1], s[4:5], 2
	s_add_u32 s0, s10, s0
	s_addc_u32 s1, s11, s1
	v_mov_b32_e32 v2, 0
	global_load_dword v2, v2, s[0:1] offset:12
	s_waitcnt vmcnt(0)
	v_subrev_u32_e32 v2, s16, v2
	v_add_u32_e32 v0, v1, v0
	v_cmp_lt_i32_e32 vcc, v0, v2
	s_and_saveexec_b64 s[0:1], vcc
	s_cbranch_execz .LBB5_47
.LBB5_45:
	s_add_i32 s4, s6, s16
	s_mov_b64 s[0:1], 0
	v_mov_b32_e32 v3, s3
	v_mov_b32_e32 v4, s4
.LBB5_46:                               ; =>This Inner Loop Header: Depth=1
	v_ashrrev_i32_e32 v1, 31, v0
	v_lshlrev_b64 v[5:6], 2, v[0:1]
	v_add_u32_e32 v0, 0x100, v0
	v_add_co_u32_e32 v5, vcc, s2, v5
	v_addc_co_u32_e32 v6, vcc, v3, v6, vcc
	v_cmp_ge_i32_e32 vcc, v0, v2
	s_or_b64 s[0:1], vcc, s[0:1]
	global_store_dword v[5:6], v4, off
	s_andn2_b64 exec, exec, s[0:1]
	s_cbranch_execnz .LBB5_46
.LBB5_47:
	s_endpgm
	.section	.rodata,"a",@progbits
	.p2align	6, 0x0
	.amdhsa_kernel _ZN9rocsparseL14csr2coo_kernelILj256ELj64EiiEEvT2_PKT1_S4_PS1_21rocsparse_index_base_
		.amdhsa_group_segment_fixed_size 20
		.amdhsa_private_segment_fixed_size 0
		.amdhsa_kernarg_size 36
		.amdhsa_user_sgpr_count 6
		.amdhsa_user_sgpr_private_segment_buffer 1
		.amdhsa_user_sgpr_dispatch_ptr 0
		.amdhsa_user_sgpr_queue_ptr 0
		.amdhsa_user_sgpr_kernarg_segment_ptr 1
		.amdhsa_user_sgpr_dispatch_id 0
		.amdhsa_user_sgpr_flat_scratch_init 0
		.amdhsa_user_sgpr_private_segment_size 0
		.amdhsa_uses_dynamic_stack 0
		.amdhsa_system_sgpr_private_segment_wavefront_offset 0
		.amdhsa_system_sgpr_workgroup_id_x 1
		.amdhsa_system_sgpr_workgroup_id_y 0
		.amdhsa_system_sgpr_workgroup_id_z 0
		.amdhsa_system_sgpr_workgroup_info 0
		.amdhsa_system_vgpr_workitem_id 0
		.amdhsa_next_free_vgpr 9
		.amdhsa_next_free_sgpr 18
		.amdhsa_reserve_vcc 1
		.amdhsa_reserve_flat_scratch 0
		.amdhsa_float_round_mode_32 0
		.amdhsa_float_round_mode_16_64 0
		.amdhsa_float_denorm_mode_32 3
		.amdhsa_float_denorm_mode_16_64 3
		.amdhsa_dx10_clamp 1
		.amdhsa_ieee_mode 1
		.amdhsa_fp16_overflow 0
		.amdhsa_exception_fp_ieee_invalid_op 0
		.amdhsa_exception_fp_denorm_src 0
		.amdhsa_exception_fp_ieee_div_zero 0
		.amdhsa_exception_fp_ieee_overflow 0
		.amdhsa_exception_fp_ieee_underflow 0
		.amdhsa_exception_fp_ieee_inexact 0
		.amdhsa_exception_int_div_zero 0
	.end_amdhsa_kernel
	.section	.text._ZN9rocsparseL14csr2coo_kernelILj256ELj64EiiEEvT2_PKT1_S4_PS1_21rocsparse_index_base_,"axG",@progbits,_ZN9rocsparseL14csr2coo_kernelILj256ELj64EiiEEvT2_PKT1_S4_PS1_21rocsparse_index_base_,comdat
.Lfunc_end5:
	.size	_ZN9rocsparseL14csr2coo_kernelILj256ELj64EiiEEvT2_PKT1_S4_PS1_21rocsparse_index_base_, .Lfunc_end5-_ZN9rocsparseL14csr2coo_kernelILj256ELj64EiiEEvT2_PKT1_S4_PS1_21rocsparse_index_base_
                                        ; -- End function
	.set _ZN9rocsparseL14csr2coo_kernelILj256ELj64EiiEEvT2_PKT1_S4_PS1_21rocsparse_index_base_.num_vgpr, 9
	.set _ZN9rocsparseL14csr2coo_kernelILj256ELj64EiiEEvT2_PKT1_S4_PS1_21rocsparse_index_base_.num_agpr, 0
	.set _ZN9rocsparseL14csr2coo_kernelILj256ELj64EiiEEvT2_PKT1_S4_PS1_21rocsparse_index_base_.numbered_sgpr, 18
	.set _ZN9rocsparseL14csr2coo_kernelILj256ELj64EiiEEvT2_PKT1_S4_PS1_21rocsparse_index_base_.num_named_barrier, 0
	.set _ZN9rocsparseL14csr2coo_kernelILj256ELj64EiiEEvT2_PKT1_S4_PS1_21rocsparse_index_base_.private_seg_size, 0
	.set _ZN9rocsparseL14csr2coo_kernelILj256ELj64EiiEEvT2_PKT1_S4_PS1_21rocsparse_index_base_.uses_vcc, 1
	.set _ZN9rocsparseL14csr2coo_kernelILj256ELj64EiiEEvT2_PKT1_S4_PS1_21rocsparse_index_base_.uses_flat_scratch, 0
	.set _ZN9rocsparseL14csr2coo_kernelILj256ELj64EiiEEvT2_PKT1_S4_PS1_21rocsparse_index_base_.has_dyn_sized_stack, 0
	.set _ZN9rocsparseL14csr2coo_kernelILj256ELj64EiiEEvT2_PKT1_S4_PS1_21rocsparse_index_base_.has_recursion, 0
	.set _ZN9rocsparseL14csr2coo_kernelILj256ELj64EiiEEvT2_PKT1_S4_PS1_21rocsparse_index_base_.has_indirect_call, 0
	.section	.AMDGPU.csdata,"",@progbits
; Kernel info:
; codeLenInByte = 1400
; TotalNumSgprs: 22
; NumVgprs: 9
; ScratchSize: 0
; MemoryBound: 0
; FloatMode: 240
; IeeeMode: 1
; LDSByteSize: 20 bytes/workgroup (compile time only)
; SGPRBlocks: 2
; VGPRBlocks: 2
; NumSGPRsForWavesPerEU: 22
; NumVGPRsForWavesPerEU: 9
; Occupancy: 10
; WaveLimiterHint : 0
; COMPUTE_PGM_RSRC2:SCRATCH_EN: 0
; COMPUTE_PGM_RSRC2:USER_SGPR: 6
; COMPUTE_PGM_RSRC2:TRAP_HANDLER: 0
; COMPUTE_PGM_RSRC2:TGID_X_EN: 1
; COMPUTE_PGM_RSRC2:TGID_Y_EN: 0
; COMPUTE_PGM_RSRC2:TGID_Z_EN: 0
; COMPUTE_PGM_RSRC2:TIDIG_COMP_CNT: 0
	.section	.text._ZN9rocsparseL14csr2coo_kernelILj256ELj128EiiEEvT2_PKT1_S4_PS1_21rocsparse_index_base_,"axG",@progbits,_ZN9rocsparseL14csr2coo_kernelILj256ELj128EiiEEvT2_PKT1_S4_PS1_21rocsparse_index_base_,comdat
	.globl	_ZN9rocsparseL14csr2coo_kernelILj256ELj128EiiEEvT2_PKT1_S4_PS1_21rocsparse_index_base_ ; -- Begin function _ZN9rocsparseL14csr2coo_kernelILj256ELj128EiiEEvT2_PKT1_S4_PS1_21rocsparse_index_base_
	.p2align	8
	.type	_ZN9rocsparseL14csr2coo_kernelILj256ELj128EiiEEvT2_PKT1_S4_PS1_21rocsparse_index_base_,@function
_ZN9rocsparseL14csr2coo_kernelILj256ELj128EiiEEvT2_PKT1_S4_PS1_21rocsparse_index_base_: ; @_ZN9rocsparseL14csr2coo_kernelILj256ELj128EiiEEvT2_PKT1_S4_PS1_21rocsparse_index_base_
; %bb.0:
	s_load_dword s17, s[4:5], 0x0
	s_load_dwordx4 s[8:11], s[4:5], 0x8
	s_load_dwordx2 s[2:3], s[4:5], 0x18
	s_load_dword s16, s[4:5], 0x20
	v_lshrrev_b32_e32 v4, 7, v0
	v_mov_b32_e32 v1, 1
	v_mov_b32_e32 v5, 0
	s_lshl_b32 s4, s6, 1
	ds_write_b32 v5, v1 offset:8
	v_or_b32_e32 v1, s4, v4
	s_waitcnt lgkmcnt(0)
	v_cmp_gt_i32_e32 vcc, s17, v1
	v_ashrrev_i32_e32 v2, 31, v1
	v_mov_b32_e32 v3, 0
	s_barrier
	s_and_saveexec_b64 s[6:7], vcc
	s_cbranch_execz .LBB6_2
; %bb.1:
	v_lshlrev_b64 v[6:7], 2, v[1:2]
	v_mov_b32_e32 v3, s9
	v_add_co_u32_e64 v6, s[0:1], s8, v6
	v_addc_co_u32_e64 v7, s[0:1], v3, v7, s[0:1]
	global_load_dword v3, v[6:7], off
	s_waitcnt vmcnt(0)
	v_subrev_u32_e32 v3, s16, v3
.LBB6_2:
	s_or_b64 exec, exec, s[6:7]
	s_and_saveexec_b64 s[0:1], vcc
	s_cbranch_execz .LBB6_4
; %bb.3:
	v_lshlrev_b64 v[5:6], 2, v[1:2]
	v_mov_b32_e32 v2, s11
	v_add_co_u32_e32 v5, vcc, s10, v5
	v_addc_co_u32_e32 v6, vcc, v2, v6, vcc
	global_load_dword v2, v[5:6], off
	s_waitcnt vmcnt(0)
	v_subrev_u32_e32 v5, s16, v2
.LBB6_4:
	s_or_b64 exec, exec, s[0:1]
	v_sub_u32_e32 v2, v5, v3
	s_movk_i32 s0, 0x401
	v_cmp_gt_u32_e32 vcc, s0, v2
	s_movk_i32 s0, 0x400
	v_cmp_lt_u32_e64 s[0:1], s0, v2
	s_and_saveexec_b64 s[6:7], s[0:1]
	s_xor_b64 s[0:1], exec, s[6:7]
; %bb.5:
	v_mov_b32_e32 v1, 0
	ds_write_b32 v1, v1 offset:8
                                        ; implicit-def: $vgpr3
                                        ; implicit-def: $vgpr5
                                        ; implicit-def: $vgpr1
; %bb.6:
	s_andn2_saveexec_b64 s[6:7], s[0:1]
	s_cbranch_execz .LBB6_11
; %bb.7:
	v_and_b32_e32 v2, 0x7f, v0
	v_add_u32_e32 v2, v3, v2
	v_cmp_lt_i32_e64 s[0:1], v2, v5
	s_and_saveexec_b64 s[12:13], s[0:1]
	s_cbranch_execz .LBB6_10
; %bb.8:
	v_add_u32_e32 v1, s16, v1
	s_mov_b64 s[14:15], 0
	v_mov_b32_e32 v6, s3
.LBB6_9:                                ; =>This Inner Loop Header: Depth=1
	v_ashrrev_i32_e32 v3, 31, v2
	v_lshlrev_b64 v[7:8], 2, v[2:3]
	v_add_u32_e32 v2, 0x80, v2
	v_add_co_u32_e64 v7, s[0:1], s2, v7
	v_addc_co_u32_e64 v8, s[0:1], v6, v8, s[0:1]
	v_cmp_ge_i32_e64 s[0:1], v2, v5
	s_or_b64 s[14:15], s[0:1], s[14:15]
	global_store_dword v[7:8], v1, off
	s_andn2_b64 exec, exec, s[14:15]
	s_cbranch_execnz .LBB6_9
.LBB6_10:
	s_or_b64 exec, exec, s[12:13]
.LBB6_11:
	s_or_b64 exec, exec, s[6:7]
	v_cndmask_b32_e64 v1, 0, 1, vcc
	v_lshlrev_b32_e32 v2, 2, v4
	ds_write_b32 v2, v1
	v_mov_b32_e32 v1, 0
	s_waitcnt vmcnt(0) lgkmcnt(0)
	s_barrier
	ds_read_b32 v2, v1 offset:8
	s_waitcnt lgkmcnt(0)
	v_cmp_ne_u32_e32 vcc, 0, v2
	s_cbranch_vccnz .LBB6_29
; %bb.12:
	ds_read_b32 v1, v1
	s_waitcnt lgkmcnt(0)
	v_cmp_ne_u32_e32 vcc, 0, v1
	s_cbranch_vccnz .LBB6_21
; %bb.13:
	s_cmp_lt_i32 s4, s17
	s_cselect_b64 s[0:1], -1, 0
	s_cmp_ge_i32 s4, s17
	v_mov_b32_e32 v3, 0
	v_mov_b32_e32 v1, 0
	s_cbranch_scc0 .LBB6_16
; %bb.14:
	s_andn2_b64 vcc, exec, s[0:1]
	s_cbranch_vccz .LBB6_17
.LBB6_15:
	v_add_u32_e32 v1, v1, v0
	v_cmp_lt_i32_e32 vcc, v1, v3
	s_and_saveexec_b64 s[0:1], vcc
	s_cbranch_execnz .LBB6_18
	s_branch .LBB6_20
.LBB6_16:
	s_ashr_i32 s5, s4, 31
	s_lshl_b64 s[6:7], s[4:5], 2
	s_add_u32 s6, s8, s6
	s_addc_u32 s7, s9, s7
	v_mov_b32_e32 v1, 0
	global_load_dword v1, v1, s[6:7]
	s_waitcnt vmcnt(0)
	v_subrev_u32_e32 v1, s16, v1
	s_andn2_b64 vcc, exec, s[0:1]
	s_cbranch_vccnz .LBB6_15
.LBB6_17:
	s_ashr_i32 s5, s4, 31
	s_lshl_b64 s[0:1], s[4:5], 2
	s_add_u32 s0, s10, s0
	s_addc_u32 s1, s11, s1
	v_mov_b32_e32 v2, 0
	global_load_dword v2, v2, s[0:1]
	s_waitcnt vmcnt(0)
	v_subrev_u32_e32 v3, s16, v2
	v_add_u32_e32 v1, v1, v0
	v_cmp_lt_i32_e32 vcc, v1, v3
	s_and_saveexec_b64 s[0:1], vcc
	s_cbranch_execz .LBB6_20
.LBB6_18:
	s_add_i32 s5, s4, s16
	s_mov_b64 s[6:7], 0
	v_mov_b32_e32 v4, s3
	v_mov_b32_e32 v5, s5
.LBB6_19:                               ; =>This Inner Loop Header: Depth=1
	v_ashrrev_i32_e32 v2, 31, v1
	v_lshlrev_b64 v[6:7], 2, v[1:2]
	v_add_u32_e32 v1, 0x100, v1
	v_add_co_u32_e32 v6, vcc, s2, v6
	v_addc_co_u32_e32 v7, vcc, v4, v7, vcc
	v_cmp_ge_i32_e32 vcc, v1, v3
	s_or_b64 s[6:7], vcc, s[6:7]
	global_store_dword v[6:7], v5, off
	s_andn2_b64 exec, exec, s[6:7]
	s_cbranch_execnz .LBB6_19
.LBB6_20:
	s_or_b64 exec, exec, s[0:1]
.LBB6_21:
	v_mov_b32_e32 v1, 0
	ds_read_b32 v2, v1 offset:4
	s_waitcnt lgkmcnt(0)
	v_cmp_ne_u32_e32 vcc, 0, v2
	s_cbranch_vccnz .LBB6_29
; %bb.22:
	s_or_b32 s6, s4, 1
	s_cmp_lt_i32 s6, s17
	s_cselect_b64 s[0:1], -1, 0
	s_cmp_ge_i32 s6, s17
	s_cbranch_scc0 .LBB6_25
; %bb.23:
	s_andn2_b64 vcc, exec, s[0:1]
	v_mov_b32_e32 v2, 0
	s_cbranch_vccz .LBB6_26
.LBB6_24:
	v_add_u32_e32 v0, v1, v0
	v_cmp_lt_i32_e32 vcc, v0, v2
	s_and_saveexec_b64 s[0:1], vcc
	s_cbranch_execnz .LBB6_27
	s_branch .LBB6_29
.LBB6_25:
	s_ashr_i32 s5, s4, 31
	s_lshl_b64 s[12:13], s[4:5], 2
	s_add_u32 s8, s8, s12
	s_addc_u32 s9, s9, s13
	v_mov_b32_e32 v1, 0
	global_load_dword v1, v1, s[8:9] offset:4
	s_waitcnt vmcnt(0)
	v_subrev_u32_e32 v1, s16, v1
	s_andn2_b64 vcc, exec, s[0:1]
	v_mov_b32_e32 v2, 0
	s_cbranch_vccnz .LBB6_24
.LBB6_26:
	s_ashr_i32 s5, s4, 31
	s_lshl_b64 s[0:1], s[4:5], 2
	s_add_u32 s0, s10, s0
	s_addc_u32 s1, s11, s1
	v_mov_b32_e32 v2, 0
	global_load_dword v2, v2, s[0:1] offset:4
	s_waitcnt vmcnt(0)
	v_subrev_u32_e32 v2, s16, v2
	v_add_u32_e32 v0, v1, v0
	v_cmp_lt_i32_e32 vcc, v0, v2
	s_and_saveexec_b64 s[0:1], vcc
	s_cbranch_execz .LBB6_29
.LBB6_27:
	s_add_i32 s4, s6, s16
	s_mov_b64 s[0:1], 0
	v_mov_b32_e32 v3, s3
	v_mov_b32_e32 v4, s4
.LBB6_28:                               ; =>This Inner Loop Header: Depth=1
	v_ashrrev_i32_e32 v1, 31, v0
	v_lshlrev_b64 v[5:6], 2, v[0:1]
	v_add_u32_e32 v0, 0x100, v0
	v_add_co_u32_e32 v5, vcc, s2, v5
	v_addc_co_u32_e32 v6, vcc, v3, v6, vcc
	v_cmp_ge_i32_e32 vcc, v0, v2
	s_or_b64 s[0:1], vcc, s[0:1]
	global_store_dword v[5:6], v4, off
	s_andn2_b64 exec, exec, s[0:1]
	s_cbranch_execnz .LBB6_28
.LBB6_29:
	s_endpgm
	.section	.rodata,"a",@progbits
	.p2align	6, 0x0
	.amdhsa_kernel _ZN9rocsparseL14csr2coo_kernelILj256ELj128EiiEEvT2_PKT1_S4_PS1_21rocsparse_index_base_
		.amdhsa_group_segment_fixed_size 12
		.amdhsa_private_segment_fixed_size 0
		.amdhsa_kernarg_size 36
		.amdhsa_user_sgpr_count 6
		.amdhsa_user_sgpr_private_segment_buffer 1
		.amdhsa_user_sgpr_dispatch_ptr 0
		.amdhsa_user_sgpr_queue_ptr 0
		.amdhsa_user_sgpr_kernarg_segment_ptr 1
		.amdhsa_user_sgpr_dispatch_id 0
		.amdhsa_user_sgpr_flat_scratch_init 0
		.amdhsa_user_sgpr_private_segment_size 0
		.amdhsa_uses_dynamic_stack 0
		.amdhsa_system_sgpr_private_segment_wavefront_offset 0
		.amdhsa_system_sgpr_workgroup_id_x 1
		.amdhsa_system_sgpr_workgroup_id_y 0
		.amdhsa_system_sgpr_workgroup_id_z 0
		.amdhsa_system_sgpr_workgroup_info 0
		.amdhsa_system_vgpr_workitem_id 0
		.amdhsa_next_free_vgpr 9
		.amdhsa_next_free_sgpr 18
		.amdhsa_reserve_vcc 1
		.amdhsa_reserve_flat_scratch 0
		.amdhsa_float_round_mode_32 0
		.amdhsa_float_round_mode_16_64 0
		.amdhsa_float_denorm_mode_32 3
		.amdhsa_float_denorm_mode_16_64 3
		.amdhsa_dx10_clamp 1
		.amdhsa_ieee_mode 1
		.amdhsa_fp16_overflow 0
		.amdhsa_exception_fp_ieee_invalid_op 0
		.amdhsa_exception_fp_denorm_src 0
		.amdhsa_exception_fp_ieee_div_zero 0
		.amdhsa_exception_fp_ieee_overflow 0
		.amdhsa_exception_fp_ieee_underflow 0
		.amdhsa_exception_fp_ieee_inexact 0
		.amdhsa_exception_int_div_zero 0
	.end_amdhsa_kernel
	.section	.text._ZN9rocsparseL14csr2coo_kernelILj256ELj128EiiEEvT2_PKT1_S4_PS1_21rocsparse_index_base_,"axG",@progbits,_ZN9rocsparseL14csr2coo_kernelILj256ELj128EiiEEvT2_PKT1_S4_PS1_21rocsparse_index_base_,comdat
.Lfunc_end6:
	.size	_ZN9rocsparseL14csr2coo_kernelILj256ELj128EiiEEvT2_PKT1_S4_PS1_21rocsparse_index_base_, .Lfunc_end6-_ZN9rocsparseL14csr2coo_kernelILj256ELj128EiiEEvT2_PKT1_S4_PS1_21rocsparse_index_base_
                                        ; -- End function
	.set _ZN9rocsparseL14csr2coo_kernelILj256ELj128EiiEEvT2_PKT1_S4_PS1_21rocsparse_index_base_.num_vgpr, 9
	.set _ZN9rocsparseL14csr2coo_kernelILj256ELj128EiiEEvT2_PKT1_S4_PS1_21rocsparse_index_base_.num_agpr, 0
	.set _ZN9rocsparseL14csr2coo_kernelILj256ELj128EiiEEvT2_PKT1_S4_PS1_21rocsparse_index_base_.numbered_sgpr, 18
	.set _ZN9rocsparseL14csr2coo_kernelILj256ELj128EiiEEvT2_PKT1_S4_PS1_21rocsparse_index_base_.num_named_barrier, 0
	.set _ZN9rocsparseL14csr2coo_kernelILj256ELj128EiiEEvT2_PKT1_S4_PS1_21rocsparse_index_base_.private_seg_size, 0
	.set _ZN9rocsparseL14csr2coo_kernelILj256ELj128EiiEEvT2_PKT1_S4_PS1_21rocsparse_index_base_.uses_vcc, 1
	.set _ZN9rocsparseL14csr2coo_kernelILj256ELj128EiiEEvT2_PKT1_S4_PS1_21rocsparse_index_base_.uses_flat_scratch, 0
	.set _ZN9rocsparseL14csr2coo_kernelILj256ELj128EiiEEvT2_PKT1_S4_PS1_21rocsparse_index_base_.has_dyn_sized_stack, 0
	.set _ZN9rocsparseL14csr2coo_kernelILj256ELj128EiiEEvT2_PKT1_S4_PS1_21rocsparse_index_base_.has_recursion, 0
	.set _ZN9rocsparseL14csr2coo_kernelILj256ELj128EiiEEvT2_PKT1_S4_PS1_21rocsparse_index_base_.has_indirect_call, 0
	.section	.AMDGPU.csdata,"",@progbits
; Kernel info:
; codeLenInByte = 888
; TotalNumSgprs: 22
; NumVgprs: 9
; ScratchSize: 0
; MemoryBound: 0
; FloatMode: 240
; IeeeMode: 1
; LDSByteSize: 12 bytes/workgroup (compile time only)
; SGPRBlocks: 2
; VGPRBlocks: 2
; NumSGPRsForWavesPerEU: 22
; NumVGPRsForWavesPerEU: 9
; Occupancy: 10
; WaveLimiterHint : 0
; COMPUTE_PGM_RSRC2:SCRATCH_EN: 0
; COMPUTE_PGM_RSRC2:USER_SGPR: 6
; COMPUTE_PGM_RSRC2:TRAP_HANDLER: 0
; COMPUTE_PGM_RSRC2:TGID_X_EN: 1
; COMPUTE_PGM_RSRC2:TGID_Y_EN: 0
; COMPUTE_PGM_RSRC2:TGID_Z_EN: 0
; COMPUTE_PGM_RSRC2:TIDIG_COMP_CNT: 0
	.section	.text._ZN9rocsparseL14csr2coo_kernelILj256ELj256EiiEEvT2_PKT1_S4_PS1_21rocsparse_index_base_,"axG",@progbits,_ZN9rocsparseL14csr2coo_kernelILj256ELj256EiiEEvT2_PKT1_S4_PS1_21rocsparse_index_base_,comdat
	.globl	_ZN9rocsparseL14csr2coo_kernelILj256ELj256EiiEEvT2_PKT1_S4_PS1_21rocsparse_index_base_ ; -- Begin function _ZN9rocsparseL14csr2coo_kernelILj256ELj256EiiEEvT2_PKT1_S4_PS1_21rocsparse_index_base_
	.p2align	8
	.type	_ZN9rocsparseL14csr2coo_kernelILj256ELj256EiiEEvT2_PKT1_S4_PS1_21rocsparse_index_base_,@function
_ZN9rocsparseL14csr2coo_kernelILj256ELj256EiiEEvT2_PKT1_S4_PS1_21rocsparse_index_base_: ; @_ZN9rocsparseL14csr2coo_kernelILj256ELj256EiiEEvT2_PKT1_S4_PS1_21rocsparse_index_base_
; %bb.0:
	s_load_dword s17, s[4:5], 0x0
	s_load_dwordx4 s[8:11], s[4:5], 0x8
	s_load_dwordx2 s[2:3], s[4:5], 0x18
	s_load_dword s16, s[4:5], 0x20
	v_mov_b32_e32 v4, 0
	v_mov_b32_e32 v1, 1
	s_waitcnt lgkmcnt(0)
	s_cmp_lt_i32 s6, s17
	ds_write_b32 v4, v1 offset:4
	v_mov_b32_e32 v1, s6
	s_cselect_b64 s[0:1], -1, 0
	v_ashrrev_i32_e64 v2, 31, s6
	v_mov_b32_e32 v3, 0
	s_waitcnt lgkmcnt(0)
	s_barrier
	s_and_saveexec_b64 s[4:5], s[0:1]
	s_cbranch_execz .LBB7_2
; %bb.1:
	v_lshlrev_b64 v[5:6], 2, v[1:2]
	v_mov_b32_e32 v3, s9
	v_add_co_u32_e32 v5, vcc, s8, v5
	v_addc_co_u32_e32 v6, vcc, v3, v6, vcc
	global_load_dword v3, v[5:6], off
	s_waitcnt vmcnt(0)
	v_subrev_u32_e32 v3, s16, v3
.LBB7_2:
	s_or_b64 exec, exec, s[4:5]
	s_and_saveexec_b64 s[4:5], s[0:1]
	s_cbranch_execz .LBB7_4
; %bb.3:
	v_lshlrev_b64 v[4:5], 2, v[1:2]
	v_mov_b32_e32 v2, s11
	v_add_co_u32_e32 v4, vcc, s10, v4
	v_addc_co_u32_e32 v5, vcc, v2, v5, vcc
	global_load_dword v2, v[4:5], off
	s_waitcnt vmcnt(0)
	v_subrev_u32_e32 v4, s16, v2
.LBB7_4:
	s_or_b64 exec, exec, s[4:5]
	v_sub_u32_e32 v2, v4, v3
	s_movk_i32 s0, 0x801
	v_cmp_gt_u32_e32 vcc, s0, v2
	s_movk_i32 s0, 0x800
	v_cmp_lt_u32_e64 s[0:1], s0, v2
	s_and_saveexec_b64 s[4:5], s[0:1]
	s_xor_b64 s[0:1], exec, s[4:5]
; %bb.5:
	v_mov_b32_e32 v1, 0
	ds_write_b32 v1, v1 offset:4
                                        ; implicit-def: $vgpr3
                                        ; implicit-def: $vgpr4
                                        ; implicit-def: $vgpr1
; %bb.6:
	s_andn2_saveexec_b64 s[4:5], s[0:1]
	s_cbranch_execz .LBB7_11
; %bb.7:
	v_add_u32_e32 v2, v3, v0
	v_cmp_lt_i32_e64 s[0:1], v2, v4
	s_and_saveexec_b64 s[12:13], s[0:1]
	s_cbranch_execz .LBB7_10
; %bb.8:
	v_add_u32_e32 v1, s16, v1
	s_mov_b64 s[14:15], 0
	v_mov_b32_e32 v5, s3
.LBB7_9:                                ; =>This Inner Loop Header: Depth=1
	v_ashrrev_i32_e32 v3, 31, v2
	v_lshlrev_b64 v[6:7], 2, v[2:3]
	v_add_u32_e32 v2, 0x100, v2
	v_add_co_u32_e64 v6, s[0:1], s2, v6
	v_addc_co_u32_e64 v7, s[0:1], v5, v7, s[0:1]
	v_cmp_ge_i32_e64 s[0:1], v2, v4
	s_or_b64 s[14:15], s[0:1], s[14:15]
	global_store_dword v[6:7], v1, off
	s_andn2_b64 exec, exec, s[14:15]
	s_cbranch_execnz .LBB7_9
.LBB7_10:
	s_or_b64 exec, exec, s[12:13]
.LBB7_11:
	s_or_b64 exec, exec, s[4:5]
	v_cndmask_b32_e64 v2, 0, 1, vcc
	v_mov_b32_e32 v1, 0
	ds_write_b32 v1, v2
	s_waitcnt vmcnt(0) lgkmcnt(0)
	s_barrier
	ds_read_b32 v2, v1 offset:4
	s_waitcnt lgkmcnt(0)
	v_cmp_ne_u32_e32 vcc, 0, v2
	s_cbranch_vccnz .LBB7_20
; %bb.12:
	ds_read_b32 v1, v1
	s_waitcnt lgkmcnt(0)
	v_cmp_ne_u32_e32 vcc, 0, v1
	s_cbranch_vccnz .LBB7_20
; %bb.13:
	s_cmp_lt_i32 s6, s17
	s_cselect_b64 s[0:1], -1, 0
	s_ashr_i32 s7, s6, 31
	s_cmp_ge_i32 s6, s17
	v_mov_b32_e32 v2, 0
	v_mov_b32_e32 v1, 0
	s_cbranch_scc0 .LBB7_16
; %bb.14:
	s_andn2_b64 vcc, exec, s[0:1]
	s_cbranch_vccz .LBB7_17
.LBB7_15:
	v_add_u32_e32 v0, v1, v0
	v_cmp_lt_i32_e32 vcc, v0, v2
	s_and_saveexec_b64 s[0:1], vcc
	s_cbranch_execnz .LBB7_18
	s_branch .LBB7_20
.LBB7_16:
	s_lshl_b64 s[4:5], s[6:7], 2
	s_add_u32 s4, s8, s4
	s_addc_u32 s5, s9, s5
	v_mov_b32_e32 v1, 0
	global_load_dword v1, v1, s[4:5]
	s_waitcnt vmcnt(0)
	v_subrev_u32_e32 v1, s16, v1
	s_andn2_b64 vcc, exec, s[0:1]
	s_cbranch_vccnz .LBB7_15
.LBB7_17:
	s_lshl_b64 s[0:1], s[6:7], 2
	s_add_u32 s0, s10, s0
	s_addc_u32 s1, s11, s1
	v_mov_b32_e32 v2, 0
	global_load_dword v2, v2, s[0:1]
	s_waitcnt vmcnt(0)
	v_subrev_u32_e32 v2, s16, v2
	v_add_u32_e32 v0, v1, v0
	v_cmp_lt_i32_e32 vcc, v0, v2
	s_and_saveexec_b64 s[0:1], vcc
	s_cbranch_execz .LBB7_20
.LBB7_18:
	s_add_i32 s4, s16, s6
	s_mov_b64 s[0:1], 0
	v_mov_b32_e32 v3, s3
	v_mov_b32_e32 v4, s4
.LBB7_19:                               ; =>This Inner Loop Header: Depth=1
	v_ashrrev_i32_e32 v1, 31, v0
	v_lshlrev_b64 v[5:6], 2, v[0:1]
	v_add_u32_e32 v0, 0x100, v0
	v_add_co_u32_e32 v5, vcc, s2, v5
	v_addc_co_u32_e32 v6, vcc, v3, v6, vcc
	v_cmp_ge_i32_e32 vcc, v0, v2
	s_or_b64 s[0:1], vcc, s[0:1]
	global_store_dword v[5:6], v4, off
	s_andn2_b64 exec, exec, s[0:1]
	s_cbranch_execnz .LBB7_19
.LBB7_20:
	s_endpgm
	.section	.rodata,"a",@progbits
	.p2align	6, 0x0
	.amdhsa_kernel _ZN9rocsparseL14csr2coo_kernelILj256ELj256EiiEEvT2_PKT1_S4_PS1_21rocsparse_index_base_
		.amdhsa_group_segment_fixed_size 8
		.amdhsa_private_segment_fixed_size 0
		.amdhsa_kernarg_size 36
		.amdhsa_user_sgpr_count 6
		.amdhsa_user_sgpr_private_segment_buffer 1
		.amdhsa_user_sgpr_dispatch_ptr 0
		.amdhsa_user_sgpr_queue_ptr 0
		.amdhsa_user_sgpr_kernarg_segment_ptr 1
		.amdhsa_user_sgpr_dispatch_id 0
		.amdhsa_user_sgpr_flat_scratch_init 0
		.amdhsa_user_sgpr_private_segment_size 0
		.amdhsa_uses_dynamic_stack 0
		.amdhsa_system_sgpr_private_segment_wavefront_offset 0
		.amdhsa_system_sgpr_workgroup_id_x 1
		.amdhsa_system_sgpr_workgroup_id_y 0
		.amdhsa_system_sgpr_workgroup_id_z 0
		.amdhsa_system_sgpr_workgroup_info 0
		.amdhsa_system_vgpr_workitem_id 0
		.amdhsa_next_free_vgpr 8
		.amdhsa_next_free_sgpr 18
		.amdhsa_reserve_vcc 1
		.amdhsa_reserve_flat_scratch 0
		.amdhsa_float_round_mode_32 0
		.amdhsa_float_round_mode_16_64 0
		.amdhsa_float_denorm_mode_32 3
		.amdhsa_float_denorm_mode_16_64 3
		.amdhsa_dx10_clamp 1
		.amdhsa_ieee_mode 1
		.amdhsa_fp16_overflow 0
		.amdhsa_exception_fp_ieee_invalid_op 0
		.amdhsa_exception_fp_denorm_src 0
		.amdhsa_exception_fp_ieee_div_zero 0
		.amdhsa_exception_fp_ieee_overflow 0
		.amdhsa_exception_fp_ieee_underflow 0
		.amdhsa_exception_fp_ieee_inexact 0
		.amdhsa_exception_int_div_zero 0
	.end_amdhsa_kernel
	.section	.text._ZN9rocsparseL14csr2coo_kernelILj256ELj256EiiEEvT2_PKT1_S4_PS1_21rocsparse_index_base_,"axG",@progbits,_ZN9rocsparseL14csr2coo_kernelILj256ELj256EiiEEvT2_PKT1_S4_PS1_21rocsparse_index_base_,comdat
.Lfunc_end7:
	.size	_ZN9rocsparseL14csr2coo_kernelILj256ELj256EiiEEvT2_PKT1_S4_PS1_21rocsparse_index_base_, .Lfunc_end7-_ZN9rocsparseL14csr2coo_kernelILj256ELj256EiiEEvT2_PKT1_S4_PS1_21rocsparse_index_base_
                                        ; -- End function
	.set _ZN9rocsparseL14csr2coo_kernelILj256ELj256EiiEEvT2_PKT1_S4_PS1_21rocsparse_index_base_.num_vgpr, 8
	.set _ZN9rocsparseL14csr2coo_kernelILj256ELj256EiiEEvT2_PKT1_S4_PS1_21rocsparse_index_base_.num_agpr, 0
	.set _ZN9rocsparseL14csr2coo_kernelILj256ELj256EiiEEvT2_PKT1_S4_PS1_21rocsparse_index_base_.numbered_sgpr, 18
	.set _ZN9rocsparseL14csr2coo_kernelILj256ELj256EiiEEvT2_PKT1_S4_PS1_21rocsparse_index_base_.num_named_barrier, 0
	.set _ZN9rocsparseL14csr2coo_kernelILj256ELj256EiiEEvT2_PKT1_S4_PS1_21rocsparse_index_base_.private_seg_size, 0
	.set _ZN9rocsparseL14csr2coo_kernelILj256ELj256EiiEEvT2_PKT1_S4_PS1_21rocsparse_index_base_.uses_vcc, 1
	.set _ZN9rocsparseL14csr2coo_kernelILj256ELj256EiiEEvT2_PKT1_S4_PS1_21rocsparse_index_base_.uses_flat_scratch, 0
	.set _ZN9rocsparseL14csr2coo_kernelILj256ELj256EiiEEvT2_PKT1_S4_PS1_21rocsparse_index_base_.has_dyn_sized_stack, 0
	.set _ZN9rocsparseL14csr2coo_kernelILj256ELj256EiiEEvT2_PKT1_S4_PS1_21rocsparse_index_base_.has_recursion, 0
	.set _ZN9rocsparseL14csr2coo_kernelILj256ELj256EiiEEvT2_PKT1_S4_PS1_21rocsparse_index_base_.has_indirect_call, 0
	.section	.AMDGPU.csdata,"",@progbits
; Kernel info:
; codeLenInByte = 620
; TotalNumSgprs: 22
; NumVgprs: 8
; ScratchSize: 0
; MemoryBound: 0
; FloatMode: 240
; IeeeMode: 1
; LDSByteSize: 8 bytes/workgroup (compile time only)
; SGPRBlocks: 2
; VGPRBlocks: 1
; NumSGPRsForWavesPerEU: 22
; NumVGPRsForWavesPerEU: 8
; Occupancy: 10
; WaveLimiterHint : 0
; COMPUTE_PGM_RSRC2:SCRATCH_EN: 0
; COMPUTE_PGM_RSRC2:USER_SGPR: 6
; COMPUTE_PGM_RSRC2:TRAP_HANDLER: 0
; COMPUTE_PGM_RSRC2:TGID_X_EN: 1
; COMPUTE_PGM_RSRC2:TGID_Y_EN: 0
; COMPUTE_PGM_RSRC2:TGID_Z_EN: 0
; COMPUTE_PGM_RSRC2:TIDIG_COMP_CNT: 0
	.section	.text._ZN9rocsparseL14csr2coo_kernelILj256ELj2EliEEvT2_PKT1_S4_PS1_21rocsparse_index_base_,"axG",@progbits,_ZN9rocsparseL14csr2coo_kernelILj256ELj2EliEEvT2_PKT1_S4_PS1_21rocsparse_index_base_,comdat
	.globl	_ZN9rocsparseL14csr2coo_kernelILj256ELj2EliEEvT2_PKT1_S4_PS1_21rocsparse_index_base_ ; -- Begin function _ZN9rocsparseL14csr2coo_kernelILj256ELj2EliEEvT2_PKT1_S4_PS1_21rocsparse_index_base_
	.p2align	8
	.type	_ZN9rocsparseL14csr2coo_kernelILj256ELj2EliEEvT2_PKT1_S4_PS1_21rocsparse_index_base_,@function
_ZN9rocsparseL14csr2coo_kernelILj256ELj2EliEEvT2_PKT1_S4_PS1_21rocsparse_index_base_: ; @_ZN9rocsparseL14csr2coo_kernelILj256ELj2EliEEvT2_PKT1_S4_PS1_21rocsparse_index_base_
; %bb.0:
	s_load_dword s16, s[4:5], 0x0
	s_load_dwordx4 s[8:11], s[4:5], 0x8
	s_load_dwordx2 s[12:13], s[4:5], 0x18
	s_load_dword s17, s[4:5], 0x20
	v_mov_b32_e32 v1, 1
	v_lshrrev_b32_e32 v8, 1, v0
	v_mov_b32_e32 v2, 0
	s_lshl_b32 s18, s6, 7
	ds_write_b32 v2, v1 offset:512
	v_or_b32_e32 v3, s18, v8
	v_mov_b32_e32 v1, 0
	v_mov_b32_e32 v5, 0
	s_waitcnt lgkmcnt(0)
	v_cmp_gt_i32_e32 vcc, s16, v3
	v_mov_b32_e32 v2, 0
	v_mov_b32_e32 v6, 0
	v_ashrrev_i32_e32 v4, 31, v3
	s_barrier
	s_and_saveexec_b64 s[2:3], vcc
	s_cbranch_execz .LBB8_2
; %bb.1:
	v_lshlrev_b64 v[5:6], 3, v[3:4]
	v_mov_b32_e32 v7, s9
	v_add_co_u32_e64 v5, s[0:1], s8, v5
	v_addc_co_u32_e64 v6, s[0:1], v7, v6, s[0:1]
	global_load_dwordx2 v[5:6], v[5:6], off
	s_waitcnt vmcnt(0)
	v_subrev_co_u32_e64 v5, s[0:1], s17, v5
	v_subbrev_co_u32_e64 v6, s[0:1], 0, v6, s[0:1]
.LBB8_2:
	s_or_b64 exec, exec, s[2:3]
	s_and_saveexec_b64 s[0:1], vcc
	s_cbranch_execz .LBB8_4
; %bb.3:
	v_lshlrev_b64 v[1:2], 3, v[3:4]
	v_mov_b32_e32 v4, s11
	v_add_co_u32_e32 v1, vcc, s10, v1
	v_addc_co_u32_e32 v2, vcc, v4, v2, vcc
	global_load_dwordx2 v[1:2], v[1:2], off
	s_waitcnt vmcnt(0)
	v_subrev_co_u32_e32 v1, vcc, s17, v1
	v_subbrev_co_u32_e32 v2, vcc, 0, v2, vcc
.LBB8_4:
	s_or_b64 exec, exec, s[0:1]
	v_sub_co_u32_e32 v9, vcc, v1, v5
	v_subb_co_u32_e32 v10, vcc, v2, v6, vcc
	v_cmp_gt_i64_e32 vcc, 17, v[9:10]
	v_cmp_lt_i64_e64 s[0:1], 16, v[9:10]
	s_and_saveexec_b64 s[2:3], s[0:1]
	s_xor_b64 s[0:1], exec, s[2:3]
; %bb.5:
	v_mov_b32_e32 v1, 0
	ds_write_b32 v1, v1 offset:512
                                        ; implicit-def: $vgpr5_vgpr6
                                        ; implicit-def: $vgpr1_vgpr2
                                        ; implicit-def: $vgpr3
; %bb.6:
	s_andn2_saveexec_b64 s[4:5], s[0:1]
	s_cbranch_execz .LBB8_11
; %bb.7:
	v_and_b32_e32 v4, 1, v0
	v_add_co_u32_e64 v4, s[0:1], v5, v4
	v_addc_co_u32_e64 v5, s[0:1], 0, v6, s[0:1]
	v_cmp_lt_i64_e64 s[0:1], v[4:5], v[1:2]
	s_and_saveexec_b64 s[6:7], s[0:1]
	s_cbranch_execz .LBB8_10
; %bb.8:
	v_lshlrev_b64 v[6:7], 2, v[4:5]
	v_mov_b32_e32 v9, s13
	v_add_co_u32_e64 v6, s[0:1], s12, v6
	v_add_u32_e32 v3, s17, v3
	v_addc_co_u32_e64 v7, s[0:1], v9, v7, s[0:1]
	s_mov_b64 s[14:15], 0
.LBB8_9:                                ; =>This Inner Loop Header: Depth=1
	v_add_co_u32_e64 v4, s[0:1], 2, v4
	v_addc_co_u32_e64 v5, s[0:1], 0, v5, s[0:1]
	v_cmp_ge_i64_e64 s[2:3], v[4:5], v[1:2]
	global_store_dword v[6:7], v3, off
	v_add_co_u32_e64 v6, s[0:1], 8, v6
	s_or_b64 s[14:15], s[2:3], s[14:15]
	v_addc_co_u32_e64 v7, s[0:1], 0, v7, s[0:1]
	s_andn2_b64 exec, exec, s[14:15]
	s_cbranch_execnz .LBB8_9
.LBB8_10:
	s_or_b64 exec, exec, s[6:7]
.LBB8_11:
	s_or_b64 exec, exec, s[4:5]
	v_cndmask_b32_e64 v1, 0, 1, vcc
	v_lshlrev_b32_e32 v2, 2, v8
	ds_write_b32 v2, v1
	v_mov_b32_e32 v1, 0
	s_waitcnt vmcnt(0) lgkmcnt(0)
	s_barrier
	ds_read_b32 v1, v1 offset:512
	s_mov_b32 s14, 0
	s_waitcnt lgkmcnt(0)
	v_cmp_ne_u32_e32 vcc, 0, v1
	s_cbranch_vccz .LBB8_13
.LBB8_12:
	s_endpgm
.LBB8_13:
	s_or_b32 s15, s18, 1
	s_ashr_i32 s19, s18, 31
	s_branch .LBB8_16
.LBB8_14:                               ;   in Loop: Header=BB8_16 Depth=1
	s_or_b64 exec, exec, s[4:5]
.LBB8_15:                               ;   in Loop: Header=BB8_16 Depth=1
	s_add_i32 s14, s14, 2
	s_cmpk_lg_i32 s14, 0x80
	s_cbranch_scc0 .LBB8_12
.LBB8_16:                               ; =>This Loop Header: Depth=1
                                        ;     Child Loop BB8_23 Depth 2
                                        ;     Child Loop BB8_32 Depth 2
	s_lshl_b32 s20, s14, 2
	v_mov_b32_e32 v1, s20
	ds_read_b32 v1, v1
	s_waitcnt lgkmcnt(0)
	v_cmp_ne_u32_e32 vcc, 0, v1
	s_cbranch_vccnz .LBB8_25
; %bb.17:                               ;   in Loop: Header=BB8_16 Depth=1
	s_or_b32 s0, s14, s18
	s_cmp_lt_i32 s0, s16
	s_mov_b64 s[2:3], 0
	s_cselect_b64 s[6:7], -1, 0
	s_cmp_ge_i32 s0, s16
	s_mov_b64 s[4:5], 0
	s_cbranch_scc1 .LBB8_19
; %bb.18:                               ;   in Loop: Header=BB8_16 Depth=1
	s_ashr_i32 s1, s0, 31
	s_lshl_b64 s[4:5], s[0:1], 3
	s_add_u32 s4, s8, s4
	s_addc_u32 s5, s9, s5
	s_load_dwordx2 s[4:5], s[4:5], 0x0
	s_waitcnt lgkmcnt(0)
	s_sub_u32 s4, s4, s17
	s_subb_u32 s5, s5, 0
.LBB8_19:                               ;   in Loop: Header=BB8_16 Depth=1
	s_andn2_b64 vcc, exec, s[6:7]
	s_cbranch_vccnz .LBB8_21
; %bb.20:                               ;   in Loop: Header=BB8_16 Depth=1
	s_ashr_i32 s1, s0, 31
	s_lshl_b64 s[2:3], s[0:1], 3
	s_add_u32 s2, s10, s2
	s_addc_u32 s3, s11, s3
	s_load_dwordx2 s[2:3], s[2:3], 0x0
	s_waitcnt lgkmcnt(0)
	s_sub_u32 s2, s2, s17
	s_subb_u32 s3, s3, 0
.LBB8_21:                               ;   in Loop: Header=BB8_16 Depth=1
	v_mov_b32_e32 v2, s5
	v_add_co_u32_e32 v1, vcc, s4, v0
	v_addc_co_u32_e32 v2, vcc, 0, v2, vcc
	v_cmp_gt_i64_e32 vcc, s[2:3], v[1:2]
	s_and_saveexec_b64 s[4:5], vcc
	s_cbranch_execz .LBB8_24
; %bb.22:                               ;   in Loop: Header=BB8_16 Depth=1
	v_lshlrev_b64 v[3:4], 2, v[1:2]
	s_add_i32 s0, s0, s17
	v_mov_b32_e32 v5, s13
	v_add_co_u32_e32 v3, vcc, s12, v3
	v_addc_co_u32_e32 v4, vcc, v5, v4, vcc
	s_mov_b64 s[6:7], 0
	v_mov_b32_e32 v5, s0
.LBB8_23:                               ;   Parent Loop BB8_16 Depth=1
                                        ; =>  This Inner Loop Header: Depth=2
	v_add_co_u32_e32 v1, vcc, 0x100, v1
	v_addc_co_u32_e32 v2, vcc, 0, v2, vcc
	v_cmp_le_i64_e64 s[0:1], s[2:3], v[1:2]
	global_store_dword v[3:4], v5, off
	v_add_co_u32_e32 v3, vcc, 0x400, v3
	s_or_b64 s[6:7], s[0:1], s[6:7]
	v_addc_co_u32_e32 v4, vcc, 0, v4, vcc
	s_andn2_b64 exec, exec, s[6:7]
	s_cbranch_execnz .LBB8_23
.LBB8_24:                               ;   in Loop: Header=BB8_16 Depth=1
	s_or_b64 exec, exec, s[4:5]
.LBB8_25:                               ;   in Loop: Header=BB8_16 Depth=1
	v_mov_b32_e32 v1, s20
	ds_read_b32 v1, v1 offset:4
	s_waitcnt lgkmcnt(0)
	v_cmp_ne_u32_e32 vcc, 0, v1
	s_cbranch_vccnz .LBB8_15
; %bb.26:                               ;   in Loop: Header=BB8_16 Depth=1
	s_or_b32 s6, s14, s15
	s_cmp_lt_i32 s6, s16
	s_mov_b64 s[2:3], 0
	s_cselect_b64 s[4:5], -1, 0
	s_cmp_ge_i32 s6, s16
	s_mov_b64 s[0:1], 0
	s_cbranch_scc1 .LBB8_28
; %bb.27:                               ;   in Loop: Header=BB8_16 Depth=1
	s_ashr_i32 s1, s14, 31
	s_add_u32 s0, s14, s18
	s_addc_u32 s1, s1, s19
	s_lshl_b64 s[0:1], s[0:1], 3
	s_add_u32 s0, s8, s0
	s_addc_u32 s1, s9, s1
	s_load_dwordx2 s[0:1], s[0:1], 0x8
	s_waitcnt lgkmcnt(0)
	s_sub_u32 s0, s0, s17
	s_subb_u32 s1, s1, 0
.LBB8_28:                               ;   in Loop: Header=BB8_16 Depth=1
	s_andn2_b64 vcc, exec, s[4:5]
	s_cbranch_vccnz .LBB8_30
; %bb.29:                               ;   in Loop: Header=BB8_16 Depth=1
	s_ashr_i32 s3, s14, 31
	s_add_u32 s2, s14, s18
	s_addc_u32 s3, s3, s19
	s_lshl_b64 s[2:3], s[2:3], 3
	s_add_u32 s2, s10, s2
	s_addc_u32 s3, s11, s3
	s_load_dwordx2 s[2:3], s[2:3], 0x8
	s_waitcnt lgkmcnt(0)
	s_sub_u32 s2, s2, s17
	s_subb_u32 s3, s3, 0
.LBB8_30:                               ;   in Loop: Header=BB8_16 Depth=1
	v_mov_b32_e32 v2, s1
	v_add_co_u32_e32 v1, vcc, s0, v0
	v_addc_co_u32_e32 v2, vcc, 0, v2, vcc
	v_cmp_gt_i64_e32 vcc, s[2:3], v[1:2]
	s_and_saveexec_b64 s[4:5], vcc
	s_cbranch_execz .LBB8_14
; %bb.31:                               ;   in Loop: Header=BB8_16 Depth=1
	v_lshlrev_b64 v[3:4], 2, v[1:2]
	v_mov_b32_e32 v5, s13
	v_add_co_u32_e32 v3, vcc, s12, v3
	s_add_i32 s20, s6, s17
	v_addc_co_u32_e32 v4, vcc, v5, v4, vcc
	s_mov_b64 s[6:7], 0
.LBB8_32:                               ;   Parent Loop BB8_16 Depth=1
                                        ; =>  This Inner Loop Header: Depth=2
	v_add_co_u32_e32 v1, vcc, 0x100, v1
	v_addc_co_u32_e32 v2, vcc, 0, v2, vcc
	v_mov_b32_e32 v5, s20
	v_cmp_le_i64_e64 s[0:1], s[2:3], v[1:2]
	global_store_dword v[3:4], v5, off
	v_add_co_u32_e32 v3, vcc, 0x400, v3
	s_or_b64 s[6:7], s[0:1], s[6:7]
	v_addc_co_u32_e32 v4, vcc, 0, v4, vcc
	s_andn2_b64 exec, exec, s[6:7]
	s_cbranch_execnz .LBB8_32
	s_branch .LBB8_14
	.section	.rodata,"a",@progbits
	.p2align	6, 0x0
	.amdhsa_kernel _ZN9rocsparseL14csr2coo_kernelILj256ELj2EliEEvT2_PKT1_S4_PS1_21rocsparse_index_base_
		.amdhsa_group_segment_fixed_size 516
		.amdhsa_private_segment_fixed_size 0
		.amdhsa_kernarg_size 36
		.amdhsa_user_sgpr_count 6
		.amdhsa_user_sgpr_private_segment_buffer 1
		.amdhsa_user_sgpr_dispatch_ptr 0
		.amdhsa_user_sgpr_queue_ptr 0
		.amdhsa_user_sgpr_kernarg_segment_ptr 1
		.amdhsa_user_sgpr_dispatch_id 0
		.amdhsa_user_sgpr_flat_scratch_init 0
		.amdhsa_user_sgpr_private_segment_size 0
		.amdhsa_uses_dynamic_stack 0
		.amdhsa_system_sgpr_private_segment_wavefront_offset 0
		.amdhsa_system_sgpr_workgroup_id_x 1
		.amdhsa_system_sgpr_workgroup_id_y 0
		.amdhsa_system_sgpr_workgroup_id_z 0
		.amdhsa_system_sgpr_workgroup_info 0
		.amdhsa_system_vgpr_workitem_id 0
		.amdhsa_next_free_vgpr 11
		.amdhsa_next_free_sgpr 21
		.amdhsa_reserve_vcc 1
		.amdhsa_reserve_flat_scratch 0
		.amdhsa_float_round_mode_32 0
		.amdhsa_float_round_mode_16_64 0
		.amdhsa_float_denorm_mode_32 3
		.amdhsa_float_denorm_mode_16_64 3
		.amdhsa_dx10_clamp 1
		.amdhsa_ieee_mode 1
		.amdhsa_fp16_overflow 0
		.amdhsa_exception_fp_ieee_invalid_op 0
		.amdhsa_exception_fp_denorm_src 0
		.amdhsa_exception_fp_ieee_div_zero 0
		.amdhsa_exception_fp_ieee_overflow 0
		.amdhsa_exception_fp_ieee_underflow 0
		.amdhsa_exception_fp_ieee_inexact 0
		.amdhsa_exception_int_div_zero 0
	.end_amdhsa_kernel
	.section	.text._ZN9rocsparseL14csr2coo_kernelILj256ELj2EliEEvT2_PKT1_S4_PS1_21rocsparse_index_base_,"axG",@progbits,_ZN9rocsparseL14csr2coo_kernelILj256ELj2EliEEvT2_PKT1_S4_PS1_21rocsparse_index_base_,comdat
.Lfunc_end8:
	.size	_ZN9rocsparseL14csr2coo_kernelILj256ELj2EliEEvT2_PKT1_S4_PS1_21rocsparse_index_base_, .Lfunc_end8-_ZN9rocsparseL14csr2coo_kernelILj256ELj2EliEEvT2_PKT1_S4_PS1_21rocsparse_index_base_
                                        ; -- End function
	.set _ZN9rocsparseL14csr2coo_kernelILj256ELj2EliEEvT2_PKT1_S4_PS1_21rocsparse_index_base_.num_vgpr, 11
	.set _ZN9rocsparseL14csr2coo_kernelILj256ELj2EliEEvT2_PKT1_S4_PS1_21rocsparse_index_base_.num_agpr, 0
	.set _ZN9rocsparseL14csr2coo_kernelILj256ELj2EliEEvT2_PKT1_S4_PS1_21rocsparse_index_base_.numbered_sgpr, 21
	.set _ZN9rocsparseL14csr2coo_kernelILj256ELj2EliEEvT2_PKT1_S4_PS1_21rocsparse_index_base_.num_named_barrier, 0
	.set _ZN9rocsparseL14csr2coo_kernelILj256ELj2EliEEvT2_PKT1_S4_PS1_21rocsparse_index_base_.private_seg_size, 0
	.set _ZN9rocsparseL14csr2coo_kernelILj256ELj2EliEEvT2_PKT1_S4_PS1_21rocsparse_index_base_.uses_vcc, 1
	.set _ZN9rocsparseL14csr2coo_kernelILj256ELj2EliEEvT2_PKT1_S4_PS1_21rocsparse_index_base_.uses_flat_scratch, 0
	.set _ZN9rocsparseL14csr2coo_kernelILj256ELj2EliEEvT2_PKT1_S4_PS1_21rocsparse_index_base_.has_dyn_sized_stack, 0
	.set _ZN9rocsparseL14csr2coo_kernelILj256ELj2EliEEvT2_PKT1_S4_PS1_21rocsparse_index_base_.has_recursion, 0
	.set _ZN9rocsparseL14csr2coo_kernelILj256ELj2EliEEvT2_PKT1_S4_PS1_21rocsparse_index_base_.has_indirect_call, 0
	.section	.AMDGPU.csdata,"",@progbits
; Kernel info:
; codeLenInByte = 996
; TotalNumSgprs: 25
; NumVgprs: 11
; ScratchSize: 0
; MemoryBound: 0
; FloatMode: 240
; IeeeMode: 1
; LDSByteSize: 516 bytes/workgroup (compile time only)
; SGPRBlocks: 3
; VGPRBlocks: 2
; NumSGPRsForWavesPerEU: 25
; NumVGPRsForWavesPerEU: 11
; Occupancy: 10
; WaveLimiterHint : 0
; COMPUTE_PGM_RSRC2:SCRATCH_EN: 0
; COMPUTE_PGM_RSRC2:USER_SGPR: 6
; COMPUTE_PGM_RSRC2:TRAP_HANDLER: 0
; COMPUTE_PGM_RSRC2:TGID_X_EN: 1
; COMPUTE_PGM_RSRC2:TGID_Y_EN: 0
; COMPUTE_PGM_RSRC2:TGID_Z_EN: 0
; COMPUTE_PGM_RSRC2:TIDIG_COMP_CNT: 0
	.section	.text._ZN9rocsparseL14csr2coo_kernelILj256ELj4EliEEvT2_PKT1_S4_PS1_21rocsparse_index_base_,"axG",@progbits,_ZN9rocsparseL14csr2coo_kernelILj256ELj4EliEEvT2_PKT1_S4_PS1_21rocsparse_index_base_,comdat
	.globl	_ZN9rocsparseL14csr2coo_kernelILj256ELj4EliEEvT2_PKT1_S4_PS1_21rocsparse_index_base_ ; -- Begin function _ZN9rocsparseL14csr2coo_kernelILj256ELj4EliEEvT2_PKT1_S4_PS1_21rocsparse_index_base_
	.p2align	8
	.type	_ZN9rocsparseL14csr2coo_kernelILj256ELj4EliEEvT2_PKT1_S4_PS1_21rocsparse_index_base_,@function
_ZN9rocsparseL14csr2coo_kernelILj256ELj4EliEEvT2_PKT1_S4_PS1_21rocsparse_index_base_: ; @_ZN9rocsparseL14csr2coo_kernelILj256ELj4EliEEvT2_PKT1_S4_PS1_21rocsparse_index_base_
; %bb.0:
	s_load_dword s16, s[4:5], 0x0
	s_load_dwordx4 s[8:11], s[4:5], 0x8
	s_load_dwordx2 s[12:13], s[4:5], 0x18
	s_load_dword s17, s[4:5], 0x20
	v_lshrrev_b32_e32 v8, 2, v0
	v_mov_b32_e32 v1, 1
	v_mov_b32_e32 v2, 0
	s_lshl_b32 s18, s6, 6
	ds_write_b32 v2, v1 offset:256
	v_or_b32_e32 v3, s18, v8
	v_mov_b32_e32 v1, 0
	v_mov_b32_e32 v5, 0
	s_waitcnt lgkmcnt(0)
	v_cmp_gt_i32_e32 vcc, s16, v3
	v_mov_b32_e32 v2, 0
	v_mov_b32_e32 v6, 0
	v_ashrrev_i32_e32 v4, 31, v3
	s_barrier
	s_and_saveexec_b64 s[2:3], vcc
	s_cbranch_execz .LBB9_2
; %bb.1:
	v_lshlrev_b64 v[5:6], 3, v[3:4]
	v_mov_b32_e32 v7, s9
	v_add_co_u32_e64 v5, s[0:1], s8, v5
	v_addc_co_u32_e64 v6, s[0:1], v7, v6, s[0:1]
	global_load_dwordx2 v[5:6], v[5:6], off
	s_waitcnt vmcnt(0)
	v_subrev_co_u32_e64 v5, s[0:1], s17, v5
	v_subbrev_co_u32_e64 v6, s[0:1], 0, v6, s[0:1]
.LBB9_2:
	s_or_b64 exec, exec, s[2:3]
	s_and_saveexec_b64 s[0:1], vcc
	s_cbranch_execz .LBB9_4
; %bb.3:
	v_lshlrev_b64 v[1:2], 3, v[3:4]
	v_mov_b32_e32 v4, s11
	v_add_co_u32_e32 v1, vcc, s10, v1
	v_addc_co_u32_e32 v2, vcc, v4, v2, vcc
	global_load_dwordx2 v[1:2], v[1:2], off
	s_waitcnt vmcnt(0)
	v_subrev_co_u32_e32 v1, vcc, s17, v1
	v_subbrev_co_u32_e32 v2, vcc, 0, v2, vcc
.LBB9_4:
	s_or_b64 exec, exec, s[0:1]
	v_sub_co_u32_e32 v9, vcc, v1, v5
	v_subb_co_u32_e32 v10, vcc, v2, v6, vcc
	v_cmp_gt_i64_e32 vcc, 33, v[9:10]
	v_cmp_lt_i64_e64 s[0:1], 32, v[9:10]
	s_and_saveexec_b64 s[2:3], s[0:1]
	s_xor_b64 s[0:1], exec, s[2:3]
; %bb.5:
	v_mov_b32_e32 v1, 0
	ds_write_b32 v1, v1 offset:256
                                        ; implicit-def: $vgpr5_vgpr6
                                        ; implicit-def: $vgpr1_vgpr2
                                        ; implicit-def: $vgpr3
; %bb.6:
	s_andn2_saveexec_b64 s[4:5], s[0:1]
	s_cbranch_execz .LBB9_11
; %bb.7:
	v_and_b32_e32 v4, 3, v0
	v_add_co_u32_e64 v4, s[0:1], v5, v4
	v_addc_co_u32_e64 v5, s[0:1], 0, v6, s[0:1]
	v_cmp_lt_i64_e64 s[0:1], v[4:5], v[1:2]
	s_and_saveexec_b64 s[6:7], s[0:1]
	s_cbranch_execz .LBB9_10
; %bb.8:
	v_lshlrev_b64 v[6:7], 2, v[4:5]
	v_mov_b32_e32 v9, s13
	v_add_co_u32_e64 v6, s[0:1], s12, v6
	v_add_u32_e32 v3, s17, v3
	v_addc_co_u32_e64 v7, s[0:1], v9, v7, s[0:1]
	s_mov_b64 s[14:15], 0
.LBB9_9:                                ; =>This Inner Loop Header: Depth=1
	v_add_co_u32_e64 v4, s[0:1], 4, v4
	v_addc_co_u32_e64 v5, s[0:1], 0, v5, s[0:1]
	v_cmp_ge_i64_e64 s[2:3], v[4:5], v[1:2]
	global_store_dword v[6:7], v3, off
	v_add_co_u32_e64 v6, s[0:1], 16, v6
	s_or_b64 s[14:15], s[2:3], s[14:15]
	v_addc_co_u32_e64 v7, s[0:1], 0, v7, s[0:1]
	s_andn2_b64 exec, exec, s[14:15]
	s_cbranch_execnz .LBB9_9
.LBB9_10:
	s_or_b64 exec, exec, s[6:7]
.LBB9_11:
	s_or_b64 exec, exec, s[4:5]
	v_cndmask_b32_e64 v1, 0, 1, vcc
	v_lshlrev_b32_e32 v2, 2, v8
	ds_write_b32 v2, v1
	v_mov_b32_e32 v1, 0
	s_waitcnt vmcnt(0) lgkmcnt(0)
	s_barrier
	ds_read_b32 v1, v1 offset:256
	s_mov_b32 s14, 0
	s_waitcnt lgkmcnt(0)
	v_cmp_ne_u32_e32 vcc, 0, v1
	s_cbranch_vccz .LBB9_13
.LBB9_12:
	s_endpgm
.LBB9_13:
	s_or_b32 s15, s18, 1
	s_ashr_i32 s19, s18, 31
	s_branch .LBB9_16
.LBB9_14:                               ;   in Loop: Header=BB9_16 Depth=1
	s_or_b64 exec, exec, s[4:5]
.LBB9_15:                               ;   in Loop: Header=BB9_16 Depth=1
	s_add_i32 s14, s14, 2
	s_cmp_lg_u32 s14, 64
	s_cbranch_scc0 .LBB9_12
.LBB9_16:                               ; =>This Loop Header: Depth=1
                                        ;     Child Loop BB9_23 Depth 2
                                        ;     Child Loop BB9_32 Depth 2
	s_lshl_b32 s20, s14, 2
	v_mov_b32_e32 v1, s20
	ds_read_b32 v1, v1
	s_waitcnt lgkmcnt(0)
	v_cmp_ne_u32_e32 vcc, 0, v1
	s_cbranch_vccnz .LBB9_25
; %bb.17:                               ;   in Loop: Header=BB9_16 Depth=1
	s_or_b32 s0, s14, s18
	s_cmp_lt_i32 s0, s16
	s_mov_b64 s[2:3], 0
	s_cselect_b64 s[6:7], -1, 0
	s_cmp_ge_i32 s0, s16
	s_mov_b64 s[4:5], 0
	s_cbranch_scc1 .LBB9_19
; %bb.18:                               ;   in Loop: Header=BB9_16 Depth=1
	s_ashr_i32 s1, s0, 31
	s_lshl_b64 s[4:5], s[0:1], 3
	s_add_u32 s4, s8, s4
	s_addc_u32 s5, s9, s5
	s_load_dwordx2 s[4:5], s[4:5], 0x0
	s_waitcnt lgkmcnt(0)
	s_sub_u32 s4, s4, s17
	s_subb_u32 s5, s5, 0
.LBB9_19:                               ;   in Loop: Header=BB9_16 Depth=1
	s_andn2_b64 vcc, exec, s[6:7]
	s_cbranch_vccnz .LBB9_21
; %bb.20:                               ;   in Loop: Header=BB9_16 Depth=1
	s_ashr_i32 s1, s0, 31
	s_lshl_b64 s[2:3], s[0:1], 3
	s_add_u32 s2, s10, s2
	s_addc_u32 s3, s11, s3
	s_load_dwordx2 s[2:3], s[2:3], 0x0
	s_waitcnt lgkmcnt(0)
	s_sub_u32 s2, s2, s17
	s_subb_u32 s3, s3, 0
.LBB9_21:                               ;   in Loop: Header=BB9_16 Depth=1
	v_mov_b32_e32 v2, s5
	v_add_co_u32_e32 v1, vcc, s4, v0
	v_addc_co_u32_e32 v2, vcc, 0, v2, vcc
	v_cmp_gt_i64_e32 vcc, s[2:3], v[1:2]
	s_and_saveexec_b64 s[4:5], vcc
	s_cbranch_execz .LBB9_24
; %bb.22:                               ;   in Loop: Header=BB9_16 Depth=1
	v_lshlrev_b64 v[3:4], 2, v[1:2]
	s_add_i32 s0, s0, s17
	v_mov_b32_e32 v5, s13
	v_add_co_u32_e32 v3, vcc, s12, v3
	v_addc_co_u32_e32 v4, vcc, v5, v4, vcc
	s_mov_b64 s[6:7], 0
	v_mov_b32_e32 v5, s0
.LBB9_23:                               ;   Parent Loop BB9_16 Depth=1
                                        ; =>  This Inner Loop Header: Depth=2
	v_add_co_u32_e32 v1, vcc, 0x100, v1
	v_addc_co_u32_e32 v2, vcc, 0, v2, vcc
	v_cmp_le_i64_e64 s[0:1], s[2:3], v[1:2]
	global_store_dword v[3:4], v5, off
	v_add_co_u32_e32 v3, vcc, 0x400, v3
	s_or_b64 s[6:7], s[0:1], s[6:7]
	v_addc_co_u32_e32 v4, vcc, 0, v4, vcc
	s_andn2_b64 exec, exec, s[6:7]
	s_cbranch_execnz .LBB9_23
.LBB9_24:                               ;   in Loop: Header=BB9_16 Depth=1
	s_or_b64 exec, exec, s[4:5]
.LBB9_25:                               ;   in Loop: Header=BB9_16 Depth=1
	v_mov_b32_e32 v1, s20
	ds_read_b32 v1, v1 offset:4
	s_waitcnt lgkmcnt(0)
	v_cmp_ne_u32_e32 vcc, 0, v1
	s_cbranch_vccnz .LBB9_15
; %bb.26:                               ;   in Loop: Header=BB9_16 Depth=1
	s_or_b32 s6, s14, s15
	s_cmp_lt_i32 s6, s16
	s_mov_b64 s[2:3], 0
	s_cselect_b64 s[4:5], -1, 0
	s_cmp_ge_i32 s6, s16
	s_mov_b64 s[0:1], 0
	s_cbranch_scc1 .LBB9_28
; %bb.27:                               ;   in Loop: Header=BB9_16 Depth=1
	s_ashr_i32 s1, s14, 31
	s_add_u32 s0, s14, s18
	s_addc_u32 s1, s1, s19
	s_lshl_b64 s[0:1], s[0:1], 3
	s_add_u32 s0, s8, s0
	s_addc_u32 s1, s9, s1
	s_load_dwordx2 s[0:1], s[0:1], 0x8
	s_waitcnt lgkmcnt(0)
	s_sub_u32 s0, s0, s17
	s_subb_u32 s1, s1, 0
.LBB9_28:                               ;   in Loop: Header=BB9_16 Depth=1
	s_andn2_b64 vcc, exec, s[4:5]
	s_cbranch_vccnz .LBB9_30
; %bb.29:                               ;   in Loop: Header=BB9_16 Depth=1
	s_ashr_i32 s3, s14, 31
	s_add_u32 s2, s14, s18
	s_addc_u32 s3, s3, s19
	s_lshl_b64 s[2:3], s[2:3], 3
	s_add_u32 s2, s10, s2
	s_addc_u32 s3, s11, s3
	s_load_dwordx2 s[2:3], s[2:3], 0x8
	s_waitcnt lgkmcnt(0)
	s_sub_u32 s2, s2, s17
	s_subb_u32 s3, s3, 0
.LBB9_30:                               ;   in Loop: Header=BB9_16 Depth=1
	v_mov_b32_e32 v2, s1
	v_add_co_u32_e32 v1, vcc, s0, v0
	v_addc_co_u32_e32 v2, vcc, 0, v2, vcc
	v_cmp_gt_i64_e32 vcc, s[2:3], v[1:2]
	s_and_saveexec_b64 s[4:5], vcc
	s_cbranch_execz .LBB9_14
; %bb.31:                               ;   in Loop: Header=BB9_16 Depth=1
	v_lshlrev_b64 v[3:4], 2, v[1:2]
	v_mov_b32_e32 v5, s13
	v_add_co_u32_e32 v3, vcc, s12, v3
	s_add_i32 s20, s6, s17
	v_addc_co_u32_e32 v4, vcc, v5, v4, vcc
	s_mov_b64 s[6:7], 0
.LBB9_32:                               ;   Parent Loop BB9_16 Depth=1
                                        ; =>  This Inner Loop Header: Depth=2
	v_add_co_u32_e32 v1, vcc, 0x100, v1
	v_addc_co_u32_e32 v2, vcc, 0, v2, vcc
	v_mov_b32_e32 v5, s20
	v_cmp_le_i64_e64 s[0:1], s[2:3], v[1:2]
	global_store_dword v[3:4], v5, off
	v_add_co_u32_e32 v3, vcc, 0x400, v3
	s_or_b64 s[6:7], s[0:1], s[6:7]
	v_addc_co_u32_e32 v4, vcc, 0, v4, vcc
	s_andn2_b64 exec, exec, s[6:7]
	s_cbranch_execnz .LBB9_32
	s_branch .LBB9_14
	.section	.rodata,"a",@progbits
	.p2align	6, 0x0
	.amdhsa_kernel _ZN9rocsparseL14csr2coo_kernelILj256ELj4EliEEvT2_PKT1_S4_PS1_21rocsparse_index_base_
		.amdhsa_group_segment_fixed_size 260
		.amdhsa_private_segment_fixed_size 0
		.amdhsa_kernarg_size 36
		.amdhsa_user_sgpr_count 6
		.amdhsa_user_sgpr_private_segment_buffer 1
		.amdhsa_user_sgpr_dispatch_ptr 0
		.amdhsa_user_sgpr_queue_ptr 0
		.amdhsa_user_sgpr_kernarg_segment_ptr 1
		.amdhsa_user_sgpr_dispatch_id 0
		.amdhsa_user_sgpr_flat_scratch_init 0
		.amdhsa_user_sgpr_private_segment_size 0
		.amdhsa_uses_dynamic_stack 0
		.amdhsa_system_sgpr_private_segment_wavefront_offset 0
		.amdhsa_system_sgpr_workgroup_id_x 1
		.amdhsa_system_sgpr_workgroup_id_y 0
		.amdhsa_system_sgpr_workgroup_id_z 0
		.amdhsa_system_sgpr_workgroup_info 0
		.amdhsa_system_vgpr_workitem_id 0
		.amdhsa_next_free_vgpr 11
		.amdhsa_next_free_sgpr 21
		.amdhsa_reserve_vcc 1
		.amdhsa_reserve_flat_scratch 0
		.amdhsa_float_round_mode_32 0
		.amdhsa_float_round_mode_16_64 0
		.amdhsa_float_denorm_mode_32 3
		.amdhsa_float_denorm_mode_16_64 3
		.amdhsa_dx10_clamp 1
		.amdhsa_ieee_mode 1
		.amdhsa_fp16_overflow 0
		.amdhsa_exception_fp_ieee_invalid_op 0
		.amdhsa_exception_fp_denorm_src 0
		.amdhsa_exception_fp_ieee_div_zero 0
		.amdhsa_exception_fp_ieee_overflow 0
		.amdhsa_exception_fp_ieee_underflow 0
		.amdhsa_exception_fp_ieee_inexact 0
		.amdhsa_exception_int_div_zero 0
	.end_amdhsa_kernel
	.section	.text._ZN9rocsparseL14csr2coo_kernelILj256ELj4EliEEvT2_PKT1_S4_PS1_21rocsparse_index_base_,"axG",@progbits,_ZN9rocsparseL14csr2coo_kernelILj256ELj4EliEEvT2_PKT1_S4_PS1_21rocsparse_index_base_,comdat
.Lfunc_end9:
	.size	_ZN9rocsparseL14csr2coo_kernelILj256ELj4EliEEvT2_PKT1_S4_PS1_21rocsparse_index_base_, .Lfunc_end9-_ZN9rocsparseL14csr2coo_kernelILj256ELj4EliEEvT2_PKT1_S4_PS1_21rocsparse_index_base_
                                        ; -- End function
	.set _ZN9rocsparseL14csr2coo_kernelILj256ELj4EliEEvT2_PKT1_S4_PS1_21rocsparse_index_base_.num_vgpr, 11
	.set _ZN9rocsparseL14csr2coo_kernelILj256ELj4EliEEvT2_PKT1_S4_PS1_21rocsparse_index_base_.num_agpr, 0
	.set _ZN9rocsparseL14csr2coo_kernelILj256ELj4EliEEvT2_PKT1_S4_PS1_21rocsparse_index_base_.numbered_sgpr, 21
	.set _ZN9rocsparseL14csr2coo_kernelILj256ELj4EliEEvT2_PKT1_S4_PS1_21rocsparse_index_base_.num_named_barrier, 0
	.set _ZN9rocsparseL14csr2coo_kernelILj256ELj4EliEEvT2_PKT1_S4_PS1_21rocsparse_index_base_.private_seg_size, 0
	.set _ZN9rocsparseL14csr2coo_kernelILj256ELj4EliEEvT2_PKT1_S4_PS1_21rocsparse_index_base_.uses_vcc, 1
	.set _ZN9rocsparseL14csr2coo_kernelILj256ELj4EliEEvT2_PKT1_S4_PS1_21rocsparse_index_base_.uses_flat_scratch, 0
	.set _ZN9rocsparseL14csr2coo_kernelILj256ELj4EliEEvT2_PKT1_S4_PS1_21rocsparse_index_base_.has_dyn_sized_stack, 0
	.set _ZN9rocsparseL14csr2coo_kernelILj256ELj4EliEEvT2_PKT1_S4_PS1_21rocsparse_index_base_.has_recursion, 0
	.set _ZN9rocsparseL14csr2coo_kernelILj256ELj4EliEEvT2_PKT1_S4_PS1_21rocsparse_index_base_.has_indirect_call, 0
	.section	.AMDGPU.csdata,"",@progbits
; Kernel info:
; codeLenInByte = 996
; TotalNumSgprs: 25
; NumVgprs: 11
; ScratchSize: 0
; MemoryBound: 0
; FloatMode: 240
; IeeeMode: 1
; LDSByteSize: 260 bytes/workgroup (compile time only)
; SGPRBlocks: 3
; VGPRBlocks: 2
; NumSGPRsForWavesPerEU: 25
; NumVGPRsForWavesPerEU: 11
; Occupancy: 10
; WaveLimiterHint : 0
; COMPUTE_PGM_RSRC2:SCRATCH_EN: 0
; COMPUTE_PGM_RSRC2:USER_SGPR: 6
; COMPUTE_PGM_RSRC2:TRAP_HANDLER: 0
; COMPUTE_PGM_RSRC2:TGID_X_EN: 1
; COMPUTE_PGM_RSRC2:TGID_Y_EN: 0
; COMPUTE_PGM_RSRC2:TGID_Z_EN: 0
; COMPUTE_PGM_RSRC2:TIDIG_COMP_CNT: 0
	.section	.text._ZN9rocsparseL14csr2coo_kernelILj256ELj8EliEEvT2_PKT1_S4_PS1_21rocsparse_index_base_,"axG",@progbits,_ZN9rocsparseL14csr2coo_kernelILj256ELj8EliEEvT2_PKT1_S4_PS1_21rocsparse_index_base_,comdat
	.globl	_ZN9rocsparseL14csr2coo_kernelILj256ELj8EliEEvT2_PKT1_S4_PS1_21rocsparse_index_base_ ; -- Begin function _ZN9rocsparseL14csr2coo_kernelILj256ELj8EliEEvT2_PKT1_S4_PS1_21rocsparse_index_base_
	.p2align	8
	.type	_ZN9rocsparseL14csr2coo_kernelILj256ELj8EliEEvT2_PKT1_S4_PS1_21rocsparse_index_base_,@function
_ZN9rocsparseL14csr2coo_kernelILj256ELj8EliEEvT2_PKT1_S4_PS1_21rocsparse_index_base_: ; @_ZN9rocsparseL14csr2coo_kernelILj256ELj8EliEEvT2_PKT1_S4_PS1_21rocsparse_index_base_
; %bb.0:
	s_load_dword s16, s[4:5], 0x0
	s_load_dwordx4 s[8:11], s[4:5], 0x8
	s_load_dwordx2 s[12:13], s[4:5], 0x18
	s_load_dword s17, s[4:5], 0x20
	v_lshrrev_b32_e32 v8, 3, v0
	v_mov_b32_e32 v1, 1
	v_mov_b32_e32 v2, 0
	s_lshl_b32 s18, s6, 5
	ds_write_b32 v2, v1 offset:128
	v_or_b32_e32 v3, s18, v8
	v_mov_b32_e32 v1, 0
	v_mov_b32_e32 v5, 0
	s_waitcnt lgkmcnt(0)
	v_cmp_gt_i32_e32 vcc, s16, v3
	v_mov_b32_e32 v2, 0
	v_mov_b32_e32 v6, 0
	v_ashrrev_i32_e32 v4, 31, v3
	s_barrier
	s_and_saveexec_b64 s[2:3], vcc
	s_cbranch_execz .LBB10_2
; %bb.1:
	v_lshlrev_b64 v[5:6], 3, v[3:4]
	v_mov_b32_e32 v7, s9
	v_add_co_u32_e64 v5, s[0:1], s8, v5
	v_addc_co_u32_e64 v6, s[0:1], v7, v6, s[0:1]
	global_load_dwordx2 v[5:6], v[5:6], off
	s_waitcnt vmcnt(0)
	v_subrev_co_u32_e64 v5, s[0:1], s17, v5
	v_subbrev_co_u32_e64 v6, s[0:1], 0, v6, s[0:1]
.LBB10_2:
	s_or_b64 exec, exec, s[2:3]
	s_and_saveexec_b64 s[0:1], vcc
	s_cbranch_execz .LBB10_4
; %bb.3:
	v_lshlrev_b64 v[1:2], 3, v[3:4]
	v_mov_b32_e32 v4, s11
	v_add_co_u32_e32 v1, vcc, s10, v1
	v_addc_co_u32_e32 v2, vcc, v4, v2, vcc
	global_load_dwordx2 v[1:2], v[1:2], off
	s_waitcnt vmcnt(0)
	v_subrev_co_u32_e32 v1, vcc, s17, v1
	v_subbrev_co_u32_e32 v2, vcc, 0, v2, vcc
.LBB10_4:
	s_or_b64 exec, exec, s[0:1]
	v_sub_co_u32_e32 v9, vcc, v1, v5
	v_subb_co_u32_e32 v10, vcc, v2, v6, vcc
	s_mov_b64 s[0:1], 0x41
	v_cmp_gt_i64_e32 vcc, s[0:1], v[9:10]
	v_cmp_lt_i64_e64 s[0:1], 64, v[9:10]
	s_and_saveexec_b64 s[2:3], s[0:1]
	s_xor_b64 s[0:1], exec, s[2:3]
; %bb.5:
	v_mov_b32_e32 v1, 0
	ds_write_b32 v1, v1 offset:128
                                        ; implicit-def: $vgpr5_vgpr6
                                        ; implicit-def: $vgpr1_vgpr2
                                        ; implicit-def: $vgpr3
; %bb.6:
	s_andn2_saveexec_b64 s[4:5], s[0:1]
	s_cbranch_execz .LBB10_11
; %bb.7:
	v_and_b32_e32 v4, 7, v0
	v_add_co_u32_e64 v4, s[0:1], v5, v4
	v_addc_co_u32_e64 v5, s[0:1], 0, v6, s[0:1]
	v_cmp_lt_i64_e64 s[0:1], v[4:5], v[1:2]
	s_and_saveexec_b64 s[6:7], s[0:1]
	s_cbranch_execz .LBB10_10
; %bb.8:
	v_lshlrev_b64 v[6:7], 2, v[4:5]
	v_mov_b32_e32 v9, s13
	v_add_co_u32_e64 v6, s[0:1], s12, v6
	v_add_u32_e32 v3, s17, v3
	v_addc_co_u32_e64 v7, s[0:1], v9, v7, s[0:1]
	s_mov_b64 s[14:15], 0
.LBB10_9:                               ; =>This Inner Loop Header: Depth=1
	v_add_co_u32_e64 v4, s[0:1], 8, v4
	v_addc_co_u32_e64 v5, s[0:1], 0, v5, s[0:1]
	v_cmp_ge_i64_e64 s[2:3], v[4:5], v[1:2]
	global_store_dword v[6:7], v3, off
	v_add_co_u32_e64 v6, s[0:1], 32, v6
	s_or_b64 s[14:15], s[2:3], s[14:15]
	v_addc_co_u32_e64 v7, s[0:1], 0, v7, s[0:1]
	s_andn2_b64 exec, exec, s[14:15]
	s_cbranch_execnz .LBB10_9
.LBB10_10:
	s_or_b64 exec, exec, s[6:7]
.LBB10_11:
	s_or_b64 exec, exec, s[4:5]
	v_cndmask_b32_e64 v1, 0, 1, vcc
	v_lshlrev_b32_e32 v2, 2, v8
	ds_write_b32 v2, v1
	v_mov_b32_e32 v1, 0
	s_waitcnt vmcnt(0) lgkmcnt(0)
	s_barrier
	ds_read_b32 v1, v1 offset:128
	s_mov_b32 s14, 0
	s_waitcnt lgkmcnt(0)
	v_cmp_ne_u32_e32 vcc, 0, v1
	s_cbranch_vccz .LBB10_13
.LBB10_12:
	s_endpgm
.LBB10_13:
	s_or_b32 s15, s18, 1
	s_ashr_i32 s19, s18, 31
	s_branch .LBB10_16
.LBB10_14:                              ;   in Loop: Header=BB10_16 Depth=1
	s_or_b64 exec, exec, s[4:5]
.LBB10_15:                              ;   in Loop: Header=BB10_16 Depth=1
	s_add_i32 s14, s14, 2
	s_cmp_lg_u32 s14, 32
	s_cbranch_scc0 .LBB10_12
.LBB10_16:                              ; =>This Loop Header: Depth=1
                                        ;     Child Loop BB10_23 Depth 2
                                        ;     Child Loop BB10_32 Depth 2
	s_lshl_b32 s20, s14, 2
	v_mov_b32_e32 v1, s20
	ds_read_b32 v1, v1
	s_waitcnt lgkmcnt(0)
	v_cmp_ne_u32_e32 vcc, 0, v1
	s_cbranch_vccnz .LBB10_25
; %bb.17:                               ;   in Loop: Header=BB10_16 Depth=1
	s_or_b32 s0, s14, s18
	s_cmp_lt_i32 s0, s16
	s_mov_b64 s[2:3], 0
	s_cselect_b64 s[6:7], -1, 0
	s_cmp_ge_i32 s0, s16
	s_mov_b64 s[4:5], 0
	s_cbranch_scc1 .LBB10_19
; %bb.18:                               ;   in Loop: Header=BB10_16 Depth=1
	s_ashr_i32 s1, s0, 31
	s_lshl_b64 s[4:5], s[0:1], 3
	s_add_u32 s4, s8, s4
	s_addc_u32 s5, s9, s5
	s_load_dwordx2 s[4:5], s[4:5], 0x0
	s_waitcnt lgkmcnt(0)
	s_sub_u32 s4, s4, s17
	s_subb_u32 s5, s5, 0
.LBB10_19:                              ;   in Loop: Header=BB10_16 Depth=1
	s_andn2_b64 vcc, exec, s[6:7]
	s_cbranch_vccnz .LBB10_21
; %bb.20:                               ;   in Loop: Header=BB10_16 Depth=1
	s_ashr_i32 s1, s0, 31
	s_lshl_b64 s[2:3], s[0:1], 3
	s_add_u32 s2, s10, s2
	s_addc_u32 s3, s11, s3
	s_load_dwordx2 s[2:3], s[2:3], 0x0
	s_waitcnt lgkmcnt(0)
	s_sub_u32 s2, s2, s17
	s_subb_u32 s3, s3, 0
.LBB10_21:                              ;   in Loop: Header=BB10_16 Depth=1
	v_mov_b32_e32 v2, s5
	v_add_co_u32_e32 v1, vcc, s4, v0
	v_addc_co_u32_e32 v2, vcc, 0, v2, vcc
	v_cmp_gt_i64_e32 vcc, s[2:3], v[1:2]
	s_and_saveexec_b64 s[4:5], vcc
	s_cbranch_execz .LBB10_24
; %bb.22:                               ;   in Loop: Header=BB10_16 Depth=1
	v_lshlrev_b64 v[3:4], 2, v[1:2]
	s_add_i32 s0, s0, s17
	v_mov_b32_e32 v5, s13
	v_add_co_u32_e32 v3, vcc, s12, v3
	v_addc_co_u32_e32 v4, vcc, v5, v4, vcc
	s_mov_b64 s[6:7], 0
	v_mov_b32_e32 v5, s0
.LBB10_23:                              ;   Parent Loop BB10_16 Depth=1
                                        ; =>  This Inner Loop Header: Depth=2
	v_add_co_u32_e32 v1, vcc, 0x100, v1
	v_addc_co_u32_e32 v2, vcc, 0, v2, vcc
	v_cmp_le_i64_e64 s[0:1], s[2:3], v[1:2]
	global_store_dword v[3:4], v5, off
	v_add_co_u32_e32 v3, vcc, 0x400, v3
	s_or_b64 s[6:7], s[0:1], s[6:7]
	v_addc_co_u32_e32 v4, vcc, 0, v4, vcc
	s_andn2_b64 exec, exec, s[6:7]
	s_cbranch_execnz .LBB10_23
.LBB10_24:                              ;   in Loop: Header=BB10_16 Depth=1
	s_or_b64 exec, exec, s[4:5]
.LBB10_25:                              ;   in Loop: Header=BB10_16 Depth=1
	v_mov_b32_e32 v1, s20
	ds_read_b32 v1, v1 offset:4
	s_waitcnt lgkmcnt(0)
	v_cmp_ne_u32_e32 vcc, 0, v1
	s_cbranch_vccnz .LBB10_15
; %bb.26:                               ;   in Loop: Header=BB10_16 Depth=1
	s_or_b32 s6, s14, s15
	s_cmp_lt_i32 s6, s16
	s_mov_b64 s[2:3], 0
	s_cselect_b64 s[4:5], -1, 0
	s_cmp_ge_i32 s6, s16
	s_mov_b64 s[0:1], 0
	s_cbranch_scc1 .LBB10_28
; %bb.27:                               ;   in Loop: Header=BB10_16 Depth=1
	s_ashr_i32 s1, s14, 31
	s_add_u32 s0, s14, s18
	s_addc_u32 s1, s1, s19
	s_lshl_b64 s[0:1], s[0:1], 3
	s_add_u32 s0, s8, s0
	s_addc_u32 s1, s9, s1
	s_load_dwordx2 s[0:1], s[0:1], 0x8
	s_waitcnt lgkmcnt(0)
	s_sub_u32 s0, s0, s17
	s_subb_u32 s1, s1, 0
.LBB10_28:                              ;   in Loop: Header=BB10_16 Depth=1
	s_andn2_b64 vcc, exec, s[4:5]
	s_cbranch_vccnz .LBB10_30
; %bb.29:                               ;   in Loop: Header=BB10_16 Depth=1
	s_ashr_i32 s3, s14, 31
	s_add_u32 s2, s14, s18
	s_addc_u32 s3, s3, s19
	s_lshl_b64 s[2:3], s[2:3], 3
	s_add_u32 s2, s10, s2
	s_addc_u32 s3, s11, s3
	s_load_dwordx2 s[2:3], s[2:3], 0x8
	s_waitcnt lgkmcnt(0)
	s_sub_u32 s2, s2, s17
	s_subb_u32 s3, s3, 0
.LBB10_30:                              ;   in Loop: Header=BB10_16 Depth=1
	v_mov_b32_e32 v2, s1
	v_add_co_u32_e32 v1, vcc, s0, v0
	v_addc_co_u32_e32 v2, vcc, 0, v2, vcc
	v_cmp_gt_i64_e32 vcc, s[2:3], v[1:2]
	s_and_saveexec_b64 s[4:5], vcc
	s_cbranch_execz .LBB10_14
; %bb.31:                               ;   in Loop: Header=BB10_16 Depth=1
	v_lshlrev_b64 v[3:4], 2, v[1:2]
	v_mov_b32_e32 v5, s13
	v_add_co_u32_e32 v3, vcc, s12, v3
	s_add_i32 s20, s6, s17
	v_addc_co_u32_e32 v4, vcc, v5, v4, vcc
	s_mov_b64 s[6:7], 0
.LBB10_32:                              ;   Parent Loop BB10_16 Depth=1
                                        ; =>  This Inner Loop Header: Depth=2
	v_add_co_u32_e32 v1, vcc, 0x100, v1
	v_addc_co_u32_e32 v2, vcc, 0, v2, vcc
	v_mov_b32_e32 v5, s20
	v_cmp_le_i64_e64 s[0:1], s[2:3], v[1:2]
	global_store_dword v[3:4], v5, off
	v_add_co_u32_e32 v3, vcc, 0x400, v3
	s_or_b64 s[6:7], s[0:1], s[6:7]
	v_addc_co_u32_e32 v4, vcc, 0, v4, vcc
	s_andn2_b64 exec, exec, s[6:7]
	s_cbranch_execnz .LBB10_32
	s_branch .LBB10_14
	.section	.rodata,"a",@progbits
	.p2align	6, 0x0
	.amdhsa_kernel _ZN9rocsparseL14csr2coo_kernelILj256ELj8EliEEvT2_PKT1_S4_PS1_21rocsparse_index_base_
		.amdhsa_group_segment_fixed_size 132
		.amdhsa_private_segment_fixed_size 0
		.amdhsa_kernarg_size 36
		.amdhsa_user_sgpr_count 6
		.amdhsa_user_sgpr_private_segment_buffer 1
		.amdhsa_user_sgpr_dispatch_ptr 0
		.amdhsa_user_sgpr_queue_ptr 0
		.amdhsa_user_sgpr_kernarg_segment_ptr 1
		.amdhsa_user_sgpr_dispatch_id 0
		.amdhsa_user_sgpr_flat_scratch_init 0
		.amdhsa_user_sgpr_private_segment_size 0
		.amdhsa_uses_dynamic_stack 0
		.amdhsa_system_sgpr_private_segment_wavefront_offset 0
		.amdhsa_system_sgpr_workgroup_id_x 1
		.amdhsa_system_sgpr_workgroup_id_y 0
		.amdhsa_system_sgpr_workgroup_id_z 0
		.amdhsa_system_sgpr_workgroup_info 0
		.amdhsa_system_vgpr_workitem_id 0
		.amdhsa_next_free_vgpr 11
		.amdhsa_next_free_sgpr 21
		.amdhsa_reserve_vcc 1
		.amdhsa_reserve_flat_scratch 0
		.amdhsa_float_round_mode_32 0
		.amdhsa_float_round_mode_16_64 0
		.amdhsa_float_denorm_mode_32 3
		.amdhsa_float_denorm_mode_16_64 3
		.amdhsa_dx10_clamp 1
		.amdhsa_ieee_mode 1
		.amdhsa_fp16_overflow 0
		.amdhsa_exception_fp_ieee_invalid_op 0
		.amdhsa_exception_fp_denorm_src 0
		.amdhsa_exception_fp_ieee_div_zero 0
		.amdhsa_exception_fp_ieee_overflow 0
		.amdhsa_exception_fp_ieee_underflow 0
		.amdhsa_exception_fp_ieee_inexact 0
		.amdhsa_exception_int_div_zero 0
	.end_amdhsa_kernel
	.section	.text._ZN9rocsparseL14csr2coo_kernelILj256ELj8EliEEvT2_PKT1_S4_PS1_21rocsparse_index_base_,"axG",@progbits,_ZN9rocsparseL14csr2coo_kernelILj256ELj8EliEEvT2_PKT1_S4_PS1_21rocsparse_index_base_,comdat
.Lfunc_end10:
	.size	_ZN9rocsparseL14csr2coo_kernelILj256ELj8EliEEvT2_PKT1_S4_PS1_21rocsparse_index_base_, .Lfunc_end10-_ZN9rocsparseL14csr2coo_kernelILj256ELj8EliEEvT2_PKT1_S4_PS1_21rocsparse_index_base_
                                        ; -- End function
	.set _ZN9rocsparseL14csr2coo_kernelILj256ELj8EliEEvT2_PKT1_S4_PS1_21rocsparse_index_base_.num_vgpr, 11
	.set _ZN9rocsparseL14csr2coo_kernelILj256ELj8EliEEvT2_PKT1_S4_PS1_21rocsparse_index_base_.num_agpr, 0
	.set _ZN9rocsparseL14csr2coo_kernelILj256ELj8EliEEvT2_PKT1_S4_PS1_21rocsparse_index_base_.numbered_sgpr, 21
	.set _ZN9rocsparseL14csr2coo_kernelILj256ELj8EliEEvT2_PKT1_S4_PS1_21rocsparse_index_base_.num_named_barrier, 0
	.set _ZN9rocsparseL14csr2coo_kernelILj256ELj8EliEEvT2_PKT1_S4_PS1_21rocsparse_index_base_.private_seg_size, 0
	.set _ZN9rocsparseL14csr2coo_kernelILj256ELj8EliEEvT2_PKT1_S4_PS1_21rocsparse_index_base_.uses_vcc, 1
	.set _ZN9rocsparseL14csr2coo_kernelILj256ELj8EliEEvT2_PKT1_S4_PS1_21rocsparse_index_base_.uses_flat_scratch, 0
	.set _ZN9rocsparseL14csr2coo_kernelILj256ELj8EliEEvT2_PKT1_S4_PS1_21rocsparse_index_base_.has_dyn_sized_stack, 0
	.set _ZN9rocsparseL14csr2coo_kernelILj256ELj8EliEEvT2_PKT1_S4_PS1_21rocsparse_index_base_.has_recursion, 0
	.set _ZN9rocsparseL14csr2coo_kernelILj256ELj8EliEEvT2_PKT1_S4_PS1_21rocsparse_index_base_.has_indirect_call, 0
	.section	.AMDGPU.csdata,"",@progbits
; Kernel info:
; codeLenInByte = 1004
; TotalNumSgprs: 25
; NumVgprs: 11
; ScratchSize: 0
; MemoryBound: 0
; FloatMode: 240
; IeeeMode: 1
; LDSByteSize: 132 bytes/workgroup (compile time only)
; SGPRBlocks: 3
; VGPRBlocks: 2
; NumSGPRsForWavesPerEU: 25
; NumVGPRsForWavesPerEU: 11
; Occupancy: 10
; WaveLimiterHint : 0
; COMPUTE_PGM_RSRC2:SCRATCH_EN: 0
; COMPUTE_PGM_RSRC2:USER_SGPR: 6
; COMPUTE_PGM_RSRC2:TRAP_HANDLER: 0
; COMPUTE_PGM_RSRC2:TGID_X_EN: 1
; COMPUTE_PGM_RSRC2:TGID_Y_EN: 0
; COMPUTE_PGM_RSRC2:TGID_Z_EN: 0
; COMPUTE_PGM_RSRC2:TIDIG_COMP_CNT: 0
	.section	.text._ZN9rocsparseL14csr2coo_kernelILj256ELj16EliEEvT2_PKT1_S4_PS1_21rocsparse_index_base_,"axG",@progbits,_ZN9rocsparseL14csr2coo_kernelILj256ELj16EliEEvT2_PKT1_S4_PS1_21rocsparse_index_base_,comdat
	.globl	_ZN9rocsparseL14csr2coo_kernelILj256ELj16EliEEvT2_PKT1_S4_PS1_21rocsparse_index_base_ ; -- Begin function _ZN9rocsparseL14csr2coo_kernelILj256ELj16EliEEvT2_PKT1_S4_PS1_21rocsparse_index_base_
	.p2align	8
	.type	_ZN9rocsparseL14csr2coo_kernelILj256ELj16EliEEvT2_PKT1_S4_PS1_21rocsparse_index_base_,@function
_ZN9rocsparseL14csr2coo_kernelILj256ELj16EliEEvT2_PKT1_S4_PS1_21rocsparse_index_base_: ; @_ZN9rocsparseL14csr2coo_kernelILj256ELj16EliEEvT2_PKT1_S4_PS1_21rocsparse_index_base_
; %bb.0:
	s_load_dword s19, s[4:5], 0x0
	s_load_dwordx4 s[8:11], s[4:5], 0x8
	s_load_dwordx2 s[12:13], s[4:5], 0x18
	s_load_dword s18, s[4:5], 0x20
	v_lshrrev_b32_e32 v8, 4, v0
	v_mov_b32_e32 v1, 1
	v_mov_b32_e32 v2, 0
	s_lshl_b32 s4, s6, 4
	ds_write_b32 v2, v1 offset:64
	v_or_b32_e32 v3, s4, v8
	v_mov_b32_e32 v1, 0
	v_mov_b32_e32 v5, 0
	s_waitcnt lgkmcnt(0)
	v_cmp_gt_i32_e32 vcc, s19, v3
	v_mov_b32_e32 v2, 0
	v_mov_b32_e32 v6, 0
	v_ashrrev_i32_e32 v4, 31, v3
	s_barrier
	s_and_saveexec_b64 s[2:3], vcc
	s_cbranch_execz .LBB11_2
; %bb.1:
	v_lshlrev_b64 v[5:6], 3, v[3:4]
	v_mov_b32_e32 v7, s9
	v_add_co_u32_e64 v5, s[0:1], s8, v5
	v_addc_co_u32_e64 v6, s[0:1], v7, v6, s[0:1]
	global_load_dwordx2 v[5:6], v[5:6], off
	s_waitcnt vmcnt(0)
	v_subrev_co_u32_e64 v5, s[0:1], s18, v5
	v_subbrev_co_u32_e64 v6, s[0:1], 0, v6, s[0:1]
.LBB11_2:
	s_or_b64 exec, exec, s[2:3]
	s_and_saveexec_b64 s[0:1], vcc
	s_cbranch_execz .LBB11_4
; %bb.3:
	v_lshlrev_b64 v[1:2], 3, v[3:4]
	v_mov_b32_e32 v4, s11
	v_add_co_u32_e32 v1, vcc, s10, v1
	v_addc_co_u32_e32 v2, vcc, v4, v2, vcc
	global_load_dwordx2 v[1:2], v[1:2], off
	s_waitcnt vmcnt(0)
	v_subrev_co_u32_e32 v1, vcc, s18, v1
	v_subbrev_co_u32_e32 v2, vcc, 0, v2, vcc
.LBB11_4:
	s_or_b64 exec, exec, s[0:1]
	v_sub_co_u32_e32 v9, vcc, v1, v5
	v_subb_co_u32_e32 v10, vcc, v2, v6, vcc
	s_mov_b64 s[0:1], 0x81
	v_cmp_gt_i64_e32 vcc, s[0:1], v[9:10]
	s_mov_b64 s[0:1], 0x80
	v_cmp_lt_i64_e64 s[0:1], s[0:1], v[9:10]
	s_and_saveexec_b64 s[2:3], s[0:1]
	s_xor_b64 s[0:1], exec, s[2:3]
; %bb.5:
	v_mov_b32_e32 v1, 0
	ds_write_b32 v1, v1 offset:64
                                        ; implicit-def: $vgpr5_vgpr6
                                        ; implicit-def: $vgpr1_vgpr2
                                        ; implicit-def: $vgpr3
; %bb.6:
	s_andn2_saveexec_b64 s[6:7], s[0:1]
	s_cbranch_execz .LBB11_11
; %bb.7:
	v_and_b32_e32 v4, 15, v0
	v_add_co_u32_e64 v4, s[0:1], v5, v4
	v_addc_co_u32_e64 v5, s[0:1], 0, v6, s[0:1]
	v_cmp_lt_i64_e64 s[0:1], v[4:5], v[1:2]
	s_and_saveexec_b64 s[14:15], s[0:1]
	s_cbranch_execz .LBB11_10
; %bb.8:
	v_lshlrev_b64 v[6:7], 2, v[4:5]
	v_mov_b32_e32 v9, s13
	v_add_co_u32_e64 v6, s[0:1], s12, v6
	v_add_u32_e32 v3, s18, v3
	v_addc_co_u32_e64 v7, s[0:1], v9, v7, s[0:1]
	s_mov_b64 s[16:17], 0
.LBB11_9:                               ; =>This Inner Loop Header: Depth=1
	v_add_co_u32_e64 v4, s[0:1], 16, v4
	v_addc_co_u32_e64 v5, s[0:1], 0, v5, s[0:1]
	v_cmp_ge_i64_e64 s[2:3], v[4:5], v[1:2]
	global_store_dword v[6:7], v3, off
	v_add_co_u32_e64 v6, s[0:1], 64, v6
	s_or_b64 s[16:17], s[2:3], s[16:17]
	v_addc_co_u32_e64 v7, s[0:1], 0, v7, s[0:1]
	s_andn2_b64 exec, exec, s[16:17]
	s_cbranch_execnz .LBB11_9
.LBB11_10:
	s_or_b64 exec, exec, s[14:15]
.LBB11_11:
	s_or_b64 exec, exec, s[6:7]
	v_cndmask_b32_e64 v1, 0, 1, vcc
	v_lshlrev_b32_e32 v2, 2, v8
	ds_write_b32 v2, v1
	v_mov_b32_e32 v1, 0
	s_waitcnt vmcnt(0) lgkmcnt(0)
	s_barrier
	ds_read_b32 v2, v1 offset:64
	s_waitcnt lgkmcnt(0)
	v_cmp_ne_u32_e32 vcc, 0, v2
	s_cbranch_vccnz .LBB11_155
; %bb.12:
	ds_read_b32 v1, v1
	s_waitcnt lgkmcnt(0)
	v_cmp_ne_u32_e32 vcc, 0, v1
	s_cbranch_vccnz .LBB11_21
; %bb.13:
	s_cmp_lt_i32 s4, s19
	s_mov_b64 s[2:3], 0
	s_cselect_b64 s[6:7], -1, 0
	s_cmp_ge_i32 s4, s19
	s_mov_b64 s[0:1], 0
	s_cbranch_scc1 .LBB11_15
; %bb.14:
	s_ashr_i32 s5, s4, 31
	s_lshl_b64 s[0:1], s[4:5], 3
	s_add_u32 s0, s8, s0
	s_addc_u32 s1, s9, s1
	s_load_dwordx2 s[0:1], s[0:1], 0x0
	s_waitcnt lgkmcnt(0)
	s_sub_u32 s0, s0, s18
	s_subb_u32 s1, s1, 0
.LBB11_15:
	s_andn2_b64 vcc, exec, s[6:7]
	s_cbranch_vccnz .LBB11_17
; %bb.16:
	s_ashr_i32 s5, s4, 31
	s_lshl_b64 s[2:3], s[4:5], 3
	s_add_u32 s2, s10, s2
	s_addc_u32 s3, s11, s3
	s_load_dwordx2 s[2:3], s[2:3], 0x0
	s_waitcnt lgkmcnt(0)
	s_sub_u32 s2, s2, s18
	s_subb_u32 s3, s3, 0
.LBB11_17:
	v_mov_b32_e32 v2, s1
	v_add_co_u32_e32 v1, vcc, s0, v0
	v_addc_co_u32_e32 v2, vcc, 0, v2, vcc
	v_cmp_gt_i64_e32 vcc, s[2:3], v[1:2]
	s_and_saveexec_b64 s[6:7], vcc
	s_cbranch_execz .LBB11_20
; %bb.18:
	v_lshlrev_b64 v[3:4], 2, v[1:2]
	s_add_i32 s0, s4, s18
	v_mov_b32_e32 v5, s13
	v_add_co_u32_e32 v3, vcc, s12, v3
	v_addc_co_u32_e32 v4, vcc, v5, v4, vcc
	s_mov_b64 s[14:15], 0
	v_mov_b32_e32 v5, s0
.LBB11_19:                              ; =>This Inner Loop Header: Depth=1
	v_add_co_u32_e32 v1, vcc, 0x100, v1
	v_addc_co_u32_e32 v2, vcc, 0, v2, vcc
	v_cmp_le_i64_e64 s[0:1], s[2:3], v[1:2]
	global_store_dword v[3:4], v5, off
	v_add_co_u32_e32 v3, vcc, 0x400, v3
	s_or_b64 s[14:15], s[0:1], s[14:15]
	v_addc_co_u32_e32 v4, vcc, 0, v4, vcc
	s_andn2_b64 exec, exec, s[14:15]
	s_cbranch_execnz .LBB11_19
.LBB11_20:
	s_or_b64 exec, exec, s[6:7]
.LBB11_21:
	v_mov_b32_e32 v5, 0
	ds_read_b32 v1, v5 offset:4
	s_waitcnt lgkmcnt(0)
	v_cmp_ne_u32_e32 vcc, 0, v1
	s_cbranch_vccz .LBB11_23
; %bb.22:
	ds_read_b32 v1, v5 offset:8
	s_waitcnt lgkmcnt(0)
	v_cmp_ne_u32_e32 vcc, 0, v1
	s_cbranch_vccnz .LBB11_39
	s_branch .LBB11_31
.LBB11_23:
	s_or_b32 s14, s4, 1
	s_cmp_lt_i32 s14, s19
	s_mov_b64 s[2:3], 0
	s_cselect_b64 s[6:7], -1, 0
	s_cmp_ge_i32 s14, s19
	s_mov_b64 s[0:1], 0
	s_cbranch_scc1 .LBB11_25
; %bb.24:
	s_ashr_i32 s5, s4, 31
	s_lshl_b64 s[0:1], s[4:5], 3
	s_add_u32 s0, s8, s0
	s_addc_u32 s1, s9, s1
	s_load_dwordx2 s[0:1], s[0:1], 0x8
	s_waitcnt lgkmcnt(0)
	s_sub_u32 s0, s0, s18
	s_subb_u32 s1, s1, 0
.LBB11_25:
	s_andn2_b64 vcc, exec, s[6:7]
	s_cbranch_vccnz .LBB11_27
; %bb.26:
	s_ashr_i32 s5, s4, 31
	s_lshl_b64 s[2:3], s[4:5], 3
	s_add_u32 s2, s10, s2
	s_addc_u32 s3, s11, s3
	s_load_dwordx2 s[2:3], s[2:3], 0x8
	s_waitcnt lgkmcnt(0)
	s_sub_u32 s2, s2, s18
	s_subb_u32 s3, s3, 0
.LBB11_27:
	v_mov_b32_e32 v2, s1
	v_add_co_u32_e32 v1, vcc, s0, v0
	v_addc_co_u32_e32 v2, vcc, 0, v2, vcc
	v_cmp_gt_i64_e32 vcc, s[2:3], v[1:2]
	s_and_saveexec_b64 s[6:7], vcc
	s_cbranch_execz .LBB11_30
; %bb.28:
	v_lshlrev_b64 v[3:4], 2, v[1:2]
	s_add_i32 s0, s14, s18
	v_mov_b32_e32 v6, s13
	v_add_co_u32_e32 v3, vcc, s12, v3
	v_addc_co_u32_e32 v4, vcc, v6, v4, vcc
	s_mov_b64 s[14:15], 0
	v_mov_b32_e32 v6, s0
.LBB11_29:                              ; =>This Inner Loop Header: Depth=1
	v_add_co_u32_e32 v1, vcc, 0x100, v1
	v_addc_co_u32_e32 v2, vcc, 0, v2, vcc
	v_cmp_le_i64_e64 s[0:1], s[2:3], v[1:2]
	global_store_dword v[3:4], v6, off
	v_add_co_u32_e32 v3, vcc, 0x400, v3
	s_or_b64 s[14:15], s[0:1], s[14:15]
	v_addc_co_u32_e32 v4, vcc, 0, v4, vcc
	s_andn2_b64 exec, exec, s[14:15]
	s_cbranch_execnz .LBB11_29
.LBB11_30:
	s_or_b64 exec, exec, s[6:7]
	ds_read_b32 v1, v5 offset:8
	s_waitcnt lgkmcnt(0)
	v_cmp_ne_u32_e32 vcc, 0, v1
	s_cbranch_vccnz .LBB11_39
.LBB11_31:
	s_or_b32 s14, s4, 2
	s_cmp_lt_i32 s14, s19
	s_mov_b64 s[2:3], 0
	s_cselect_b64 s[6:7], -1, 0
	s_cmp_ge_i32 s14, s19
	s_mov_b64 s[0:1], 0
	s_cbranch_scc1 .LBB11_33
; %bb.32:
	s_ashr_i32 s5, s4, 31
	s_lshl_b64 s[0:1], s[4:5], 3
	s_add_u32 s0, s8, s0
	s_addc_u32 s1, s9, s1
	s_load_dwordx2 s[0:1], s[0:1], 0x10
	s_waitcnt lgkmcnt(0)
	s_sub_u32 s0, s0, s18
	s_subb_u32 s1, s1, 0
.LBB11_33:
	s_andn2_b64 vcc, exec, s[6:7]
	s_cbranch_vccnz .LBB11_35
; %bb.34:
	s_ashr_i32 s5, s4, 31
	s_lshl_b64 s[2:3], s[4:5], 3
	s_add_u32 s2, s10, s2
	s_addc_u32 s3, s11, s3
	s_load_dwordx2 s[2:3], s[2:3], 0x10
	s_waitcnt lgkmcnt(0)
	s_sub_u32 s2, s2, s18
	s_subb_u32 s3, s3, 0
.LBB11_35:
	v_mov_b32_e32 v2, s1
	v_add_co_u32_e32 v1, vcc, s0, v0
	v_addc_co_u32_e32 v2, vcc, 0, v2, vcc
	v_cmp_gt_i64_e32 vcc, s[2:3], v[1:2]
	s_and_saveexec_b64 s[6:7], vcc
	s_cbranch_execz .LBB11_38
; %bb.36:
	v_lshlrev_b64 v[3:4], 2, v[1:2]
	s_add_i32 s0, s14, s18
	v_mov_b32_e32 v5, s13
	v_add_co_u32_e32 v3, vcc, s12, v3
	v_addc_co_u32_e32 v4, vcc, v5, v4, vcc
	s_mov_b64 s[14:15], 0
	v_mov_b32_e32 v5, s0
.LBB11_37:                              ; =>This Inner Loop Header: Depth=1
	v_add_co_u32_e32 v1, vcc, 0x100, v1
	v_addc_co_u32_e32 v2, vcc, 0, v2, vcc
	v_cmp_le_i64_e64 s[0:1], s[2:3], v[1:2]
	global_store_dword v[3:4], v5, off
	v_add_co_u32_e32 v3, vcc, 0x400, v3
	s_or_b64 s[14:15], s[0:1], s[14:15]
	v_addc_co_u32_e32 v4, vcc, 0, v4, vcc
	s_andn2_b64 exec, exec, s[14:15]
	s_cbranch_execnz .LBB11_37
.LBB11_38:
	s_or_b64 exec, exec, s[6:7]
.LBB11_39:
	v_mov_b32_e32 v5, 0
	ds_read_b32 v1, v5 offset:12
	s_waitcnt lgkmcnt(0)
	v_cmp_ne_u32_e32 vcc, 0, v1
	s_cbranch_vccz .LBB11_41
; %bb.40:
	ds_read_b32 v1, v5 offset:16
	s_waitcnt lgkmcnt(0)
	v_cmp_ne_u32_e32 vcc, 0, v1
	s_cbranch_vccnz .LBB11_57
	s_branch .LBB11_49
.LBB11_41:
	s_or_b32 s14, s4, 3
	s_cmp_lt_i32 s14, s19
	s_mov_b64 s[2:3], 0
	s_cselect_b64 s[6:7], -1, 0
	s_cmp_ge_i32 s14, s19
	s_mov_b64 s[0:1], 0
	s_cbranch_scc1 .LBB11_43
; %bb.42:
	s_ashr_i32 s5, s4, 31
	s_lshl_b64 s[0:1], s[4:5], 3
	s_add_u32 s0, s8, s0
	s_addc_u32 s1, s9, s1
	s_load_dwordx2 s[0:1], s[0:1], 0x18
	s_waitcnt lgkmcnt(0)
	s_sub_u32 s0, s0, s18
	s_subb_u32 s1, s1, 0
.LBB11_43:
	s_andn2_b64 vcc, exec, s[6:7]
	s_cbranch_vccnz .LBB11_45
; %bb.44:
	s_ashr_i32 s5, s4, 31
	s_lshl_b64 s[2:3], s[4:5], 3
	s_add_u32 s2, s10, s2
	s_addc_u32 s3, s11, s3
	s_load_dwordx2 s[2:3], s[2:3], 0x18
	s_waitcnt lgkmcnt(0)
	s_sub_u32 s2, s2, s18
	s_subb_u32 s3, s3, 0
.LBB11_45:
	v_mov_b32_e32 v2, s1
	v_add_co_u32_e32 v1, vcc, s0, v0
	v_addc_co_u32_e32 v2, vcc, 0, v2, vcc
	v_cmp_gt_i64_e32 vcc, s[2:3], v[1:2]
	s_and_saveexec_b64 s[6:7], vcc
	s_cbranch_execz .LBB11_48
; %bb.46:
	v_lshlrev_b64 v[3:4], 2, v[1:2]
	s_add_i32 s0, s14, s18
	v_mov_b32_e32 v6, s13
	v_add_co_u32_e32 v3, vcc, s12, v3
	v_addc_co_u32_e32 v4, vcc, v6, v4, vcc
	s_mov_b64 s[14:15], 0
	v_mov_b32_e32 v6, s0
.LBB11_47:                              ; =>This Inner Loop Header: Depth=1
	v_add_co_u32_e32 v1, vcc, 0x100, v1
	v_addc_co_u32_e32 v2, vcc, 0, v2, vcc
	v_cmp_le_i64_e64 s[0:1], s[2:3], v[1:2]
	global_store_dword v[3:4], v6, off
	v_add_co_u32_e32 v3, vcc, 0x400, v3
	s_or_b64 s[14:15], s[0:1], s[14:15]
	v_addc_co_u32_e32 v4, vcc, 0, v4, vcc
	s_andn2_b64 exec, exec, s[14:15]
	s_cbranch_execnz .LBB11_47
.LBB11_48:
	s_or_b64 exec, exec, s[6:7]
	ds_read_b32 v1, v5 offset:16
	s_waitcnt lgkmcnt(0)
	v_cmp_ne_u32_e32 vcc, 0, v1
	s_cbranch_vccnz .LBB11_57
.LBB11_49:
	s_or_b32 s14, s4, 4
	s_cmp_lt_i32 s14, s19
	s_mov_b64 s[2:3], 0
	s_cselect_b64 s[6:7], -1, 0
	s_cmp_ge_i32 s14, s19
	s_mov_b64 s[0:1], 0
	s_cbranch_scc1 .LBB11_51
; %bb.50:
	s_ashr_i32 s5, s4, 31
	s_lshl_b64 s[0:1], s[4:5], 3
	s_add_u32 s0, s8, s0
	s_addc_u32 s1, s9, s1
	s_load_dwordx2 s[0:1], s[0:1], 0x20
	s_waitcnt lgkmcnt(0)
	s_sub_u32 s0, s0, s18
	s_subb_u32 s1, s1, 0
.LBB11_51:
	s_andn2_b64 vcc, exec, s[6:7]
	s_cbranch_vccnz .LBB11_53
; %bb.52:
	s_ashr_i32 s5, s4, 31
	s_lshl_b64 s[2:3], s[4:5], 3
	s_add_u32 s2, s10, s2
	s_addc_u32 s3, s11, s3
	s_load_dwordx2 s[2:3], s[2:3], 0x20
	s_waitcnt lgkmcnt(0)
	s_sub_u32 s2, s2, s18
	s_subb_u32 s3, s3, 0
.LBB11_53:
	v_mov_b32_e32 v2, s1
	v_add_co_u32_e32 v1, vcc, s0, v0
	v_addc_co_u32_e32 v2, vcc, 0, v2, vcc
	v_cmp_gt_i64_e32 vcc, s[2:3], v[1:2]
	s_and_saveexec_b64 s[6:7], vcc
	s_cbranch_execz .LBB11_56
; %bb.54:
	v_lshlrev_b64 v[3:4], 2, v[1:2]
	s_add_i32 s0, s14, s18
	v_mov_b32_e32 v5, s13
	v_add_co_u32_e32 v3, vcc, s12, v3
	v_addc_co_u32_e32 v4, vcc, v5, v4, vcc
	s_mov_b64 s[14:15], 0
	v_mov_b32_e32 v5, s0
.LBB11_55:                              ; =>This Inner Loop Header: Depth=1
	v_add_co_u32_e32 v1, vcc, 0x100, v1
	v_addc_co_u32_e32 v2, vcc, 0, v2, vcc
	v_cmp_le_i64_e64 s[0:1], s[2:3], v[1:2]
	global_store_dword v[3:4], v5, off
	v_add_co_u32_e32 v3, vcc, 0x400, v3
	s_or_b64 s[14:15], s[0:1], s[14:15]
	v_addc_co_u32_e32 v4, vcc, 0, v4, vcc
	s_andn2_b64 exec, exec, s[14:15]
	s_cbranch_execnz .LBB11_55
.LBB11_56:
	s_or_b64 exec, exec, s[6:7]
.LBB11_57:
	v_mov_b32_e32 v5, 0
	ds_read_b32 v1, v5 offset:20
	s_waitcnt lgkmcnt(0)
	v_cmp_ne_u32_e32 vcc, 0, v1
	s_cbranch_vccz .LBB11_59
; %bb.58:
	ds_read_b32 v1, v5 offset:24
	s_waitcnt lgkmcnt(0)
	v_cmp_ne_u32_e32 vcc, 0, v1
	s_cbranch_vccnz .LBB11_75
	s_branch .LBB11_67
.LBB11_59:
	s_or_b32 s14, s4, 5
	s_cmp_lt_i32 s14, s19
	s_mov_b64 s[2:3], 0
	s_cselect_b64 s[6:7], -1, 0
	s_cmp_ge_i32 s14, s19
	s_mov_b64 s[0:1], 0
	s_cbranch_scc1 .LBB11_61
; %bb.60:
	s_ashr_i32 s5, s4, 31
	s_lshl_b64 s[0:1], s[4:5], 3
	s_add_u32 s0, s8, s0
	s_addc_u32 s1, s9, s1
	s_load_dwordx2 s[0:1], s[0:1], 0x28
	s_waitcnt lgkmcnt(0)
	s_sub_u32 s0, s0, s18
	s_subb_u32 s1, s1, 0
.LBB11_61:
	s_andn2_b64 vcc, exec, s[6:7]
	s_cbranch_vccnz .LBB11_63
; %bb.62:
	s_ashr_i32 s5, s4, 31
	s_lshl_b64 s[2:3], s[4:5], 3
	s_add_u32 s2, s10, s2
	s_addc_u32 s3, s11, s3
	s_load_dwordx2 s[2:3], s[2:3], 0x28
	s_waitcnt lgkmcnt(0)
	s_sub_u32 s2, s2, s18
	s_subb_u32 s3, s3, 0
.LBB11_63:
	v_mov_b32_e32 v2, s1
	v_add_co_u32_e32 v1, vcc, s0, v0
	v_addc_co_u32_e32 v2, vcc, 0, v2, vcc
	v_cmp_gt_i64_e32 vcc, s[2:3], v[1:2]
	s_and_saveexec_b64 s[6:7], vcc
	s_cbranch_execz .LBB11_66
; %bb.64:
	v_lshlrev_b64 v[3:4], 2, v[1:2]
	s_add_i32 s0, s14, s18
	v_mov_b32_e32 v6, s13
	v_add_co_u32_e32 v3, vcc, s12, v3
	v_addc_co_u32_e32 v4, vcc, v6, v4, vcc
	s_mov_b64 s[14:15], 0
	v_mov_b32_e32 v6, s0
.LBB11_65:                              ; =>This Inner Loop Header: Depth=1
	v_add_co_u32_e32 v1, vcc, 0x100, v1
	v_addc_co_u32_e32 v2, vcc, 0, v2, vcc
	v_cmp_le_i64_e64 s[0:1], s[2:3], v[1:2]
	global_store_dword v[3:4], v6, off
	v_add_co_u32_e32 v3, vcc, 0x400, v3
	s_or_b64 s[14:15], s[0:1], s[14:15]
	v_addc_co_u32_e32 v4, vcc, 0, v4, vcc
	s_andn2_b64 exec, exec, s[14:15]
	s_cbranch_execnz .LBB11_65
.LBB11_66:
	s_or_b64 exec, exec, s[6:7]
	ds_read_b32 v1, v5 offset:24
	s_waitcnt lgkmcnt(0)
	v_cmp_ne_u32_e32 vcc, 0, v1
	s_cbranch_vccnz .LBB11_75
.LBB11_67:
	s_or_b32 s14, s4, 6
	s_cmp_lt_i32 s14, s19
	s_mov_b64 s[2:3], 0
	s_cselect_b64 s[6:7], -1, 0
	s_cmp_ge_i32 s14, s19
	s_mov_b64 s[0:1], 0
	s_cbranch_scc1 .LBB11_69
; %bb.68:
	s_ashr_i32 s5, s4, 31
	s_lshl_b64 s[0:1], s[4:5], 3
	s_add_u32 s0, s8, s0
	s_addc_u32 s1, s9, s1
	s_load_dwordx2 s[0:1], s[0:1], 0x30
	s_waitcnt lgkmcnt(0)
	s_sub_u32 s0, s0, s18
	s_subb_u32 s1, s1, 0
.LBB11_69:
	s_andn2_b64 vcc, exec, s[6:7]
	s_cbranch_vccnz .LBB11_71
; %bb.70:
	s_ashr_i32 s5, s4, 31
	s_lshl_b64 s[2:3], s[4:5], 3
	s_add_u32 s2, s10, s2
	s_addc_u32 s3, s11, s3
	s_load_dwordx2 s[2:3], s[2:3], 0x30
	s_waitcnt lgkmcnt(0)
	s_sub_u32 s2, s2, s18
	s_subb_u32 s3, s3, 0
.LBB11_71:
	v_mov_b32_e32 v2, s1
	v_add_co_u32_e32 v1, vcc, s0, v0
	v_addc_co_u32_e32 v2, vcc, 0, v2, vcc
	v_cmp_gt_i64_e32 vcc, s[2:3], v[1:2]
	s_and_saveexec_b64 s[6:7], vcc
	s_cbranch_execz .LBB11_74
; %bb.72:
	v_lshlrev_b64 v[3:4], 2, v[1:2]
	s_add_i32 s0, s14, s18
	v_mov_b32_e32 v5, s13
	v_add_co_u32_e32 v3, vcc, s12, v3
	v_addc_co_u32_e32 v4, vcc, v5, v4, vcc
	s_mov_b64 s[14:15], 0
	v_mov_b32_e32 v5, s0
.LBB11_73:                              ; =>This Inner Loop Header: Depth=1
	v_add_co_u32_e32 v1, vcc, 0x100, v1
	v_addc_co_u32_e32 v2, vcc, 0, v2, vcc
	v_cmp_le_i64_e64 s[0:1], s[2:3], v[1:2]
	global_store_dword v[3:4], v5, off
	v_add_co_u32_e32 v3, vcc, 0x400, v3
	s_or_b64 s[14:15], s[0:1], s[14:15]
	v_addc_co_u32_e32 v4, vcc, 0, v4, vcc
	s_andn2_b64 exec, exec, s[14:15]
	s_cbranch_execnz .LBB11_73
.LBB11_74:
	s_or_b64 exec, exec, s[6:7]
.LBB11_75:
	v_mov_b32_e32 v5, 0
	ds_read_b32 v1, v5 offset:28
	s_waitcnt lgkmcnt(0)
	v_cmp_ne_u32_e32 vcc, 0, v1
	s_cbranch_vccz .LBB11_77
; %bb.76:
	ds_read_b32 v1, v5 offset:32
	s_waitcnt lgkmcnt(0)
	v_cmp_ne_u32_e32 vcc, 0, v1
	s_cbranch_vccnz .LBB11_93
	s_branch .LBB11_85
.LBB11_77:
	s_or_b32 s14, s4, 7
	s_cmp_lt_i32 s14, s19
	s_mov_b64 s[2:3], 0
	s_cselect_b64 s[6:7], -1, 0
	s_cmp_ge_i32 s14, s19
	s_mov_b64 s[0:1], 0
	s_cbranch_scc1 .LBB11_79
; %bb.78:
	s_ashr_i32 s5, s4, 31
	s_lshl_b64 s[0:1], s[4:5], 3
	s_add_u32 s0, s8, s0
	s_addc_u32 s1, s9, s1
	s_load_dwordx2 s[0:1], s[0:1], 0x38
	s_waitcnt lgkmcnt(0)
	s_sub_u32 s0, s0, s18
	s_subb_u32 s1, s1, 0
.LBB11_79:
	s_andn2_b64 vcc, exec, s[6:7]
	s_cbranch_vccnz .LBB11_81
; %bb.80:
	s_ashr_i32 s5, s4, 31
	s_lshl_b64 s[2:3], s[4:5], 3
	s_add_u32 s2, s10, s2
	s_addc_u32 s3, s11, s3
	s_load_dwordx2 s[2:3], s[2:3], 0x38
	s_waitcnt lgkmcnt(0)
	s_sub_u32 s2, s2, s18
	s_subb_u32 s3, s3, 0
.LBB11_81:
	v_mov_b32_e32 v2, s1
	v_add_co_u32_e32 v1, vcc, s0, v0
	v_addc_co_u32_e32 v2, vcc, 0, v2, vcc
	v_cmp_gt_i64_e32 vcc, s[2:3], v[1:2]
	s_and_saveexec_b64 s[6:7], vcc
	s_cbranch_execz .LBB11_84
; %bb.82:
	v_lshlrev_b64 v[3:4], 2, v[1:2]
	s_add_i32 s0, s14, s18
	v_mov_b32_e32 v6, s13
	v_add_co_u32_e32 v3, vcc, s12, v3
	v_addc_co_u32_e32 v4, vcc, v6, v4, vcc
	s_mov_b64 s[14:15], 0
	v_mov_b32_e32 v6, s0
.LBB11_83:                              ; =>This Inner Loop Header: Depth=1
	v_add_co_u32_e32 v1, vcc, 0x100, v1
	v_addc_co_u32_e32 v2, vcc, 0, v2, vcc
	v_cmp_le_i64_e64 s[0:1], s[2:3], v[1:2]
	global_store_dword v[3:4], v6, off
	v_add_co_u32_e32 v3, vcc, 0x400, v3
	s_or_b64 s[14:15], s[0:1], s[14:15]
	v_addc_co_u32_e32 v4, vcc, 0, v4, vcc
	s_andn2_b64 exec, exec, s[14:15]
	s_cbranch_execnz .LBB11_83
.LBB11_84:
	s_or_b64 exec, exec, s[6:7]
	ds_read_b32 v1, v5 offset:32
	s_waitcnt lgkmcnt(0)
	v_cmp_ne_u32_e32 vcc, 0, v1
	s_cbranch_vccnz .LBB11_93
.LBB11_85:
	s_or_b32 s14, s4, 8
	s_cmp_lt_i32 s14, s19
	s_mov_b64 s[2:3], 0
	s_cselect_b64 s[6:7], -1, 0
	s_cmp_ge_i32 s14, s19
	s_mov_b64 s[0:1], 0
	s_cbranch_scc1 .LBB11_87
; %bb.86:
	s_ashr_i32 s5, s4, 31
	s_lshl_b64 s[0:1], s[4:5], 3
	s_add_u32 s0, s8, s0
	s_addc_u32 s1, s9, s1
	s_load_dwordx2 s[0:1], s[0:1], 0x40
	s_waitcnt lgkmcnt(0)
	s_sub_u32 s0, s0, s18
	s_subb_u32 s1, s1, 0
.LBB11_87:
	s_andn2_b64 vcc, exec, s[6:7]
	s_cbranch_vccnz .LBB11_89
; %bb.88:
	s_ashr_i32 s5, s4, 31
	s_lshl_b64 s[2:3], s[4:5], 3
	s_add_u32 s2, s10, s2
	s_addc_u32 s3, s11, s3
	s_load_dwordx2 s[2:3], s[2:3], 0x40
	s_waitcnt lgkmcnt(0)
	s_sub_u32 s2, s2, s18
	s_subb_u32 s3, s3, 0
.LBB11_89:
	v_mov_b32_e32 v2, s1
	v_add_co_u32_e32 v1, vcc, s0, v0
	v_addc_co_u32_e32 v2, vcc, 0, v2, vcc
	v_cmp_gt_i64_e32 vcc, s[2:3], v[1:2]
	s_and_saveexec_b64 s[6:7], vcc
	s_cbranch_execz .LBB11_92
; %bb.90:
	v_lshlrev_b64 v[3:4], 2, v[1:2]
	s_add_i32 s0, s14, s18
	v_mov_b32_e32 v5, s13
	v_add_co_u32_e32 v3, vcc, s12, v3
	v_addc_co_u32_e32 v4, vcc, v5, v4, vcc
	s_mov_b64 s[14:15], 0
	v_mov_b32_e32 v5, s0
.LBB11_91:                              ; =>This Inner Loop Header: Depth=1
	v_add_co_u32_e32 v1, vcc, 0x100, v1
	v_addc_co_u32_e32 v2, vcc, 0, v2, vcc
	v_cmp_le_i64_e64 s[0:1], s[2:3], v[1:2]
	global_store_dword v[3:4], v5, off
	v_add_co_u32_e32 v3, vcc, 0x400, v3
	s_or_b64 s[14:15], s[0:1], s[14:15]
	v_addc_co_u32_e32 v4, vcc, 0, v4, vcc
	s_andn2_b64 exec, exec, s[14:15]
	s_cbranch_execnz .LBB11_91
.LBB11_92:
	s_or_b64 exec, exec, s[6:7]
.LBB11_93:
	v_mov_b32_e32 v5, 0
	ds_read_b32 v1, v5 offset:36
	s_waitcnt lgkmcnt(0)
	v_cmp_ne_u32_e32 vcc, 0, v1
	s_cbranch_vccz .LBB11_95
; %bb.94:
	ds_read_b32 v1, v5 offset:40
	s_waitcnt lgkmcnt(0)
	v_cmp_ne_u32_e32 vcc, 0, v1
	s_cbranch_vccnz .LBB11_111
	s_branch .LBB11_103
.LBB11_95:
	s_or_b32 s14, s4, 9
	s_cmp_lt_i32 s14, s19
	s_mov_b64 s[2:3], 0
	s_cselect_b64 s[6:7], -1, 0
	s_cmp_ge_i32 s14, s19
	s_mov_b64 s[0:1], 0
	s_cbranch_scc1 .LBB11_97
; %bb.96:
	s_ashr_i32 s5, s4, 31
	s_lshl_b64 s[0:1], s[4:5], 3
	s_add_u32 s0, s8, s0
	s_addc_u32 s1, s9, s1
	s_load_dwordx2 s[0:1], s[0:1], 0x48
	s_waitcnt lgkmcnt(0)
	s_sub_u32 s0, s0, s18
	s_subb_u32 s1, s1, 0
.LBB11_97:
	s_andn2_b64 vcc, exec, s[6:7]
	s_cbranch_vccnz .LBB11_99
; %bb.98:
	s_ashr_i32 s5, s4, 31
	s_lshl_b64 s[2:3], s[4:5], 3
	s_add_u32 s2, s10, s2
	s_addc_u32 s3, s11, s3
	s_load_dwordx2 s[2:3], s[2:3], 0x48
	s_waitcnt lgkmcnt(0)
	s_sub_u32 s2, s2, s18
	s_subb_u32 s3, s3, 0
.LBB11_99:
	v_mov_b32_e32 v2, s1
	v_add_co_u32_e32 v1, vcc, s0, v0
	v_addc_co_u32_e32 v2, vcc, 0, v2, vcc
	v_cmp_gt_i64_e32 vcc, s[2:3], v[1:2]
	s_and_saveexec_b64 s[6:7], vcc
	s_cbranch_execz .LBB11_102
; %bb.100:
	v_lshlrev_b64 v[3:4], 2, v[1:2]
	s_add_i32 s0, s14, s18
	v_mov_b32_e32 v6, s13
	v_add_co_u32_e32 v3, vcc, s12, v3
	v_addc_co_u32_e32 v4, vcc, v6, v4, vcc
	s_mov_b64 s[14:15], 0
	v_mov_b32_e32 v6, s0
.LBB11_101:                             ; =>This Inner Loop Header: Depth=1
	v_add_co_u32_e32 v1, vcc, 0x100, v1
	v_addc_co_u32_e32 v2, vcc, 0, v2, vcc
	v_cmp_le_i64_e64 s[0:1], s[2:3], v[1:2]
	global_store_dword v[3:4], v6, off
	v_add_co_u32_e32 v3, vcc, 0x400, v3
	s_or_b64 s[14:15], s[0:1], s[14:15]
	v_addc_co_u32_e32 v4, vcc, 0, v4, vcc
	s_andn2_b64 exec, exec, s[14:15]
	s_cbranch_execnz .LBB11_101
.LBB11_102:
	s_or_b64 exec, exec, s[6:7]
	ds_read_b32 v1, v5 offset:40
	s_waitcnt lgkmcnt(0)
	v_cmp_ne_u32_e32 vcc, 0, v1
	s_cbranch_vccnz .LBB11_111
.LBB11_103:
	s_or_b32 s14, s4, 10
	s_cmp_lt_i32 s14, s19
	s_mov_b64 s[2:3], 0
	s_cselect_b64 s[6:7], -1, 0
	s_cmp_ge_i32 s14, s19
	s_mov_b64 s[0:1], 0
	s_cbranch_scc1 .LBB11_105
; %bb.104:
	s_ashr_i32 s5, s4, 31
	s_lshl_b64 s[0:1], s[4:5], 3
	s_add_u32 s0, s8, s0
	s_addc_u32 s1, s9, s1
	s_load_dwordx2 s[0:1], s[0:1], 0x50
	s_waitcnt lgkmcnt(0)
	s_sub_u32 s0, s0, s18
	s_subb_u32 s1, s1, 0
.LBB11_105:
	s_andn2_b64 vcc, exec, s[6:7]
	s_cbranch_vccnz .LBB11_107
; %bb.106:
	s_ashr_i32 s5, s4, 31
	s_lshl_b64 s[2:3], s[4:5], 3
	s_add_u32 s2, s10, s2
	s_addc_u32 s3, s11, s3
	s_load_dwordx2 s[2:3], s[2:3], 0x50
	s_waitcnt lgkmcnt(0)
	s_sub_u32 s2, s2, s18
	s_subb_u32 s3, s3, 0
.LBB11_107:
	v_mov_b32_e32 v2, s1
	v_add_co_u32_e32 v1, vcc, s0, v0
	v_addc_co_u32_e32 v2, vcc, 0, v2, vcc
	v_cmp_gt_i64_e32 vcc, s[2:3], v[1:2]
	s_and_saveexec_b64 s[6:7], vcc
	s_cbranch_execz .LBB11_110
; %bb.108:
	v_lshlrev_b64 v[3:4], 2, v[1:2]
	s_add_i32 s0, s14, s18
	v_mov_b32_e32 v5, s13
	v_add_co_u32_e32 v3, vcc, s12, v3
	v_addc_co_u32_e32 v4, vcc, v5, v4, vcc
	s_mov_b64 s[14:15], 0
	v_mov_b32_e32 v5, s0
.LBB11_109:                             ; =>This Inner Loop Header: Depth=1
	v_add_co_u32_e32 v1, vcc, 0x100, v1
	v_addc_co_u32_e32 v2, vcc, 0, v2, vcc
	v_cmp_le_i64_e64 s[0:1], s[2:3], v[1:2]
	global_store_dword v[3:4], v5, off
	v_add_co_u32_e32 v3, vcc, 0x400, v3
	s_or_b64 s[14:15], s[0:1], s[14:15]
	v_addc_co_u32_e32 v4, vcc, 0, v4, vcc
	s_andn2_b64 exec, exec, s[14:15]
	s_cbranch_execnz .LBB11_109
.LBB11_110:
	s_or_b64 exec, exec, s[6:7]
.LBB11_111:
	v_mov_b32_e32 v5, 0
	ds_read_b32 v1, v5 offset:44
	s_waitcnt lgkmcnt(0)
	v_cmp_ne_u32_e32 vcc, 0, v1
	s_cbranch_vccz .LBB11_113
; %bb.112:
	ds_read_b32 v1, v5 offset:48
	s_waitcnt lgkmcnt(0)
	v_cmp_ne_u32_e32 vcc, 0, v1
	s_cbranch_vccnz .LBB11_129
	s_branch .LBB11_121
.LBB11_113:
	s_or_b32 s14, s4, 11
	s_cmp_lt_i32 s14, s19
	s_mov_b64 s[2:3], 0
	s_cselect_b64 s[6:7], -1, 0
	s_cmp_ge_i32 s14, s19
	s_mov_b64 s[0:1], 0
	s_cbranch_scc1 .LBB11_115
; %bb.114:
	s_ashr_i32 s5, s4, 31
	s_lshl_b64 s[0:1], s[4:5], 3
	s_add_u32 s0, s8, s0
	s_addc_u32 s1, s9, s1
	s_load_dwordx2 s[0:1], s[0:1], 0x58
	s_waitcnt lgkmcnt(0)
	s_sub_u32 s0, s0, s18
	s_subb_u32 s1, s1, 0
.LBB11_115:
	s_andn2_b64 vcc, exec, s[6:7]
	s_cbranch_vccnz .LBB11_117
; %bb.116:
	s_ashr_i32 s5, s4, 31
	s_lshl_b64 s[2:3], s[4:5], 3
	s_add_u32 s2, s10, s2
	s_addc_u32 s3, s11, s3
	s_load_dwordx2 s[2:3], s[2:3], 0x58
	s_waitcnt lgkmcnt(0)
	s_sub_u32 s2, s2, s18
	s_subb_u32 s3, s3, 0
.LBB11_117:
	v_mov_b32_e32 v2, s1
	v_add_co_u32_e32 v1, vcc, s0, v0
	v_addc_co_u32_e32 v2, vcc, 0, v2, vcc
	v_cmp_gt_i64_e32 vcc, s[2:3], v[1:2]
	s_and_saveexec_b64 s[6:7], vcc
	s_cbranch_execz .LBB11_120
; %bb.118:
	v_lshlrev_b64 v[3:4], 2, v[1:2]
	s_add_i32 s0, s14, s18
	v_mov_b32_e32 v6, s13
	v_add_co_u32_e32 v3, vcc, s12, v3
	v_addc_co_u32_e32 v4, vcc, v6, v4, vcc
	s_mov_b64 s[14:15], 0
	v_mov_b32_e32 v6, s0
.LBB11_119:                             ; =>This Inner Loop Header: Depth=1
	v_add_co_u32_e32 v1, vcc, 0x100, v1
	v_addc_co_u32_e32 v2, vcc, 0, v2, vcc
	v_cmp_le_i64_e64 s[0:1], s[2:3], v[1:2]
	global_store_dword v[3:4], v6, off
	v_add_co_u32_e32 v3, vcc, 0x400, v3
	s_or_b64 s[14:15], s[0:1], s[14:15]
	v_addc_co_u32_e32 v4, vcc, 0, v4, vcc
	s_andn2_b64 exec, exec, s[14:15]
	s_cbranch_execnz .LBB11_119
.LBB11_120:
	s_or_b64 exec, exec, s[6:7]
	ds_read_b32 v1, v5 offset:48
	s_waitcnt lgkmcnt(0)
	v_cmp_ne_u32_e32 vcc, 0, v1
	s_cbranch_vccnz .LBB11_129
.LBB11_121:
	s_or_b32 s14, s4, 12
	s_cmp_lt_i32 s14, s19
	s_mov_b64 s[2:3], 0
	s_cselect_b64 s[6:7], -1, 0
	s_cmp_ge_i32 s14, s19
	s_mov_b64 s[0:1], 0
	s_cbranch_scc1 .LBB11_123
; %bb.122:
	s_ashr_i32 s5, s4, 31
	s_lshl_b64 s[0:1], s[4:5], 3
	s_add_u32 s0, s8, s0
	s_addc_u32 s1, s9, s1
	s_load_dwordx2 s[0:1], s[0:1], 0x60
	s_waitcnt lgkmcnt(0)
	s_sub_u32 s0, s0, s18
	s_subb_u32 s1, s1, 0
.LBB11_123:
	s_andn2_b64 vcc, exec, s[6:7]
	s_cbranch_vccnz .LBB11_125
; %bb.124:
	s_ashr_i32 s5, s4, 31
	s_lshl_b64 s[2:3], s[4:5], 3
	s_add_u32 s2, s10, s2
	s_addc_u32 s3, s11, s3
	s_load_dwordx2 s[2:3], s[2:3], 0x60
	s_waitcnt lgkmcnt(0)
	s_sub_u32 s2, s2, s18
	s_subb_u32 s3, s3, 0
.LBB11_125:
	v_mov_b32_e32 v2, s1
	v_add_co_u32_e32 v1, vcc, s0, v0
	v_addc_co_u32_e32 v2, vcc, 0, v2, vcc
	v_cmp_gt_i64_e32 vcc, s[2:3], v[1:2]
	s_and_saveexec_b64 s[6:7], vcc
	s_cbranch_execz .LBB11_128
; %bb.126:
	v_lshlrev_b64 v[3:4], 2, v[1:2]
	s_add_i32 s0, s14, s18
	v_mov_b32_e32 v5, s13
	v_add_co_u32_e32 v3, vcc, s12, v3
	v_addc_co_u32_e32 v4, vcc, v5, v4, vcc
	s_mov_b64 s[14:15], 0
	v_mov_b32_e32 v5, s0
.LBB11_127:                             ; =>This Inner Loop Header: Depth=1
	v_add_co_u32_e32 v1, vcc, 0x100, v1
	v_addc_co_u32_e32 v2, vcc, 0, v2, vcc
	v_cmp_le_i64_e64 s[0:1], s[2:3], v[1:2]
	global_store_dword v[3:4], v5, off
	v_add_co_u32_e32 v3, vcc, 0x400, v3
	s_or_b64 s[14:15], s[0:1], s[14:15]
	v_addc_co_u32_e32 v4, vcc, 0, v4, vcc
	s_andn2_b64 exec, exec, s[14:15]
	s_cbranch_execnz .LBB11_127
.LBB11_128:
	s_or_b64 exec, exec, s[6:7]
.LBB11_129:
	v_mov_b32_e32 v5, 0
	ds_read_b32 v1, v5 offset:52
	s_waitcnt lgkmcnt(0)
	v_cmp_ne_u32_e32 vcc, 0, v1
	s_cbranch_vccz .LBB11_131
; %bb.130:
	ds_read_b32 v1, v5 offset:56
	s_waitcnt lgkmcnt(0)
	v_cmp_ne_u32_e32 vcc, 0, v1
	s_cbranch_vccnz .LBB11_147
	s_branch .LBB11_139
.LBB11_131:
	s_or_b32 s14, s4, 13
	s_cmp_lt_i32 s14, s19
	s_mov_b64 s[2:3], 0
	s_cselect_b64 s[6:7], -1, 0
	s_cmp_ge_i32 s14, s19
	s_mov_b64 s[0:1], 0
	s_cbranch_scc1 .LBB11_133
; %bb.132:
	s_ashr_i32 s5, s4, 31
	s_lshl_b64 s[0:1], s[4:5], 3
	s_add_u32 s0, s8, s0
	s_addc_u32 s1, s9, s1
	s_load_dwordx2 s[0:1], s[0:1], 0x68
	s_waitcnt lgkmcnt(0)
	s_sub_u32 s0, s0, s18
	s_subb_u32 s1, s1, 0
.LBB11_133:
	s_andn2_b64 vcc, exec, s[6:7]
	s_cbranch_vccnz .LBB11_135
; %bb.134:
	s_ashr_i32 s5, s4, 31
	s_lshl_b64 s[2:3], s[4:5], 3
	s_add_u32 s2, s10, s2
	s_addc_u32 s3, s11, s3
	s_load_dwordx2 s[2:3], s[2:3], 0x68
	s_waitcnt lgkmcnt(0)
	s_sub_u32 s2, s2, s18
	s_subb_u32 s3, s3, 0
.LBB11_135:
	v_mov_b32_e32 v2, s1
	v_add_co_u32_e32 v1, vcc, s0, v0
	v_addc_co_u32_e32 v2, vcc, 0, v2, vcc
	v_cmp_gt_i64_e32 vcc, s[2:3], v[1:2]
	s_and_saveexec_b64 s[6:7], vcc
	s_cbranch_execz .LBB11_138
; %bb.136:
	v_lshlrev_b64 v[3:4], 2, v[1:2]
	s_add_i32 s0, s14, s18
	v_mov_b32_e32 v6, s13
	v_add_co_u32_e32 v3, vcc, s12, v3
	v_addc_co_u32_e32 v4, vcc, v6, v4, vcc
	s_mov_b64 s[14:15], 0
	v_mov_b32_e32 v6, s0
.LBB11_137:                             ; =>This Inner Loop Header: Depth=1
	v_add_co_u32_e32 v1, vcc, 0x100, v1
	v_addc_co_u32_e32 v2, vcc, 0, v2, vcc
	v_cmp_le_i64_e64 s[0:1], s[2:3], v[1:2]
	global_store_dword v[3:4], v6, off
	v_add_co_u32_e32 v3, vcc, 0x400, v3
	s_or_b64 s[14:15], s[0:1], s[14:15]
	v_addc_co_u32_e32 v4, vcc, 0, v4, vcc
	s_andn2_b64 exec, exec, s[14:15]
	s_cbranch_execnz .LBB11_137
.LBB11_138:
	s_or_b64 exec, exec, s[6:7]
	ds_read_b32 v1, v5 offset:56
	s_waitcnt lgkmcnt(0)
	v_cmp_ne_u32_e32 vcc, 0, v1
	s_cbranch_vccnz .LBB11_147
.LBB11_139:
	s_or_b32 s14, s4, 14
	s_cmp_lt_i32 s14, s19
	s_mov_b64 s[2:3], 0
	s_cselect_b64 s[6:7], -1, 0
	s_cmp_ge_i32 s14, s19
	s_mov_b64 s[0:1], 0
	s_cbranch_scc1 .LBB11_141
; %bb.140:
	s_ashr_i32 s5, s4, 31
	s_lshl_b64 s[0:1], s[4:5], 3
	s_add_u32 s0, s8, s0
	s_addc_u32 s1, s9, s1
	s_load_dwordx2 s[0:1], s[0:1], 0x70
	s_waitcnt lgkmcnt(0)
	s_sub_u32 s0, s0, s18
	s_subb_u32 s1, s1, 0
.LBB11_141:
	s_andn2_b64 vcc, exec, s[6:7]
	s_cbranch_vccnz .LBB11_143
; %bb.142:
	s_ashr_i32 s5, s4, 31
	s_lshl_b64 s[2:3], s[4:5], 3
	s_add_u32 s2, s10, s2
	s_addc_u32 s3, s11, s3
	s_load_dwordx2 s[2:3], s[2:3], 0x70
	s_waitcnt lgkmcnt(0)
	s_sub_u32 s2, s2, s18
	s_subb_u32 s3, s3, 0
.LBB11_143:
	v_mov_b32_e32 v2, s1
	v_add_co_u32_e32 v1, vcc, s0, v0
	v_addc_co_u32_e32 v2, vcc, 0, v2, vcc
	v_cmp_gt_i64_e32 vcc, s[2:3], v[1:2]
	s_and_saveexec_b64 s[6:7], vcc
	s_cbranch_execz .LBB11_146
; %bb.144:
	v_lshlrev_b64 v[3:4], 2, v[1:2]
	s_add_i32 s0, s14, s18
	v_mov_b32_e32 v5, s13
	v_add_co_u32_e32 v3, vcc, s12, v3
	v_addc_co_u32_e32 v4, vcc, v5, v4, vcc
	s_mov_b64 s[14:15], 0
	v_mov_b32_e32 v5, s0
.LBB11_145:                             ; =>This Inner Loop Header: Depth=1
	v_add_co_u32_e32 v1, vcc, 0x100, v1
	v_addc_co_u32_e32 v2, vcc, 0, v2, vcc
	v_cmp_le_i64_e64 s[0:1], s[2:3], v[1:2]
	global_store_dword v[3:4], v5, off
	v_add_co_u32_e32 v3, vcc, 0x400, v3
	s_or_b64 s[14:15], s[0:1], s[14:15]
	v_addc_co_u32_e32 v4, vcc, 0, v4, vcc
	s_andn2_b64 exec, exec, s[14:15]
	s_cbranch_execnz .LBB11_145
.LBB11_146:
	s_or_b64 exec, exec, s[6:7]
.LBB11_147:
	v_mov_b32_e32 v1, 0
	ds_read_b32 v1, v1 offset:60
	s_waitcnt lgkmcnt(0)
	v_cmp_ne_u32_e32 vcc, 0, v1
	s_cbranch_vccnz .LBB11_155
; %bb.148:
	s_or_b32 s14, s4, 15
	s_cmp_lt_i32 s14, s19
	s_mov_b64 s[2:3], 0
	s_cselect_b64 s[6:7], -1, 0
	s_cmp_ge_i32 s14, s19
	s_mov_b64 s[0:1], 0
	s_cbranch_scc1 .LBB11_150
; %bb.149:
	s_ashr_i32 s5, s4, 31
	s_lshl_b64 s[0:1], s[4:5], 3
	s_add_u32 s0, s8, s0
	s_addc_u32 s1, s9, s1
	s_load_dwordx2 s[0:1], s[0:1], 0x78
	s_waitcnt lgkmcnt(0)
	s_sub_u32 s0, s0, s18
	s_subb_u32 s1, s1, 0
.LBB11_150:
	s_andn2_b64 vcc, exec, s[6:7]
	s_cbranch_vccnz .LBB11_152
; %bb.151:
	s_ashr_i32 s5, s4, 31
	s_lshl_b64 s[2:3], s[4:5], 3
	s_add_u32 s2, s10, s2
	s_addc_u32 s3, s11, s3
	s_load_dwordx2 s[2:3], s[2:3], 0x78
	s_waitcnt lgkmcnt(0)
	s_sub_u32 s2, s2, s18
	s_subb_u32 s3, s3, 0
.LBB11_152:
	v_mov_b32_e32 v1, s1
	v_add_co_u32_e32 v0, vcc, s0, v0
	v_addc_co_u32_e32 v1, vcc, 0, v1, vcc
	v_cmp_gt_i64_e32 vcc, s[2:3], v[0:1]
	s_and_saveexec_b64 s[0:1], vcc
	s_cbranch_execz .LBB11_155
; %bb.153:
	v_lshlrev_b64 v[2:3], 2, v[0:1]
	s_add_i32 s0, s14, s18
	v_mov_b32_e32 v4, s13
	v_add_co_u32_e32 v2, vcc, s12, v2
	v_addc_co_u32_e32 v3, vcc, v4, v3, vcc
	s_mov_b64 s[4:5], 0
	v_mov_b32_e32 v4, s0
.LBB11_154:                             ; =>This Inner Loop Header: Depth=1
	v_add_co_u32_e32 v0, vcc, 0x100, v0
	v_addc_co_u32_e32 v1, vcc, 0, v1, vcc
	v_cmp_le_i64_e64 s[0:1], s[2:3], v[0:1]
	global_store_dword v[2:3], v4, off
	v_add_co_u32_e32 v2, vcc, 0x400, v2
	s_or_b64 s[4:5], s[0:1], s[4:5]
	v_addc_co_u32_e32 v3, vcc, 0, v3, vcc
	s_andn2_b64 exec, exec, s[4:5]
	s_cbranch_execnz .LBB11_154
.LBB11_155:
	s_endpgm
	.section	.rodata,"a",@progbits
	.p2align	6, 0x0
	.amdhsa_kernel _ZN9rocsparseL14csr2coo_kernelILj256ELj16EliEEvT2_PKT1_S4_PS1_21rocsparse_index_base_
		.amdhsa_group_segment_fixed_size 68
		.amdhsa_private_segment_fixed_size 0
		.amdhsa_kernarg_size 36
		.amdhsa_user_sgpr_count 6
		.amdhsa_user_sgpr_private_segment_buffer 1
		.amdhsa_user_sgpr_dispatch_ptr 0
		.amdhsa_user_sgpr_queue_ptr 0
		.amdhsa_user_sgpr_kernarg_segment_ptr 1
		.amdhsa_user_sgpr_dispatch_id 0
		.amdhsa_user_sgpr_flat_scratch_init 0
		.amdhsa_user_sgpr_private_segment_size 0
		.amdhsa_uses_dynamic_stack 0
		.amdhsa_system_sgpr_private_segment_wavefront_offset 0
		.amdhsa_system_sgpr_workgroup_id_x 1
		.amdhsa_system_sgpr_workgroup_id_y 0
		.amdhsa_system_sgpr_workgroup_id_z 0
		.amdhsa_system_sgpr_workgroup_info 0
		.amdhsa_system_vgpr_workitem_id 0
		.amdhsa_next_free_vgpr 11
		.amdhsa_next_free_sgpr 20
		.amdhsa_reserve_vcc 1
		.amdhsa_reserve_flat_scratch 0
		.amdhsa_float_round_mode_32 0
		.amdhsa_float_round_mode_16_64 0
		.amdhsa_float_denorm_mode_32 3
		.amdhsa_float_denorm_mode_16_64 3
		.amdhsa_dx10_clamp 1
		.amdhsa_ieee_mode 1
		.amdhsa_fp16_overflow 0
		.amdhsa_exception_fp_ieee_invalid_op 0
		.amdhsa_exception_fp_denorm_src 0
		.amdhsa_exception_fp_ieee_div_zero 0
		.amdhsa_exception_fp_ieee_overflow 0
		.amdhsa_exception_fp_ieee_underflow 0
		.amdhsa_exception_fp_ieee_inexact 0
		.amdhsa_exception_int_div_zero 0
	.end_amdhsa_kernel
	.section	.text._ZN9rocsparseL14csr2coo_kernelILj256ELj16EliEEvT2_PKT1_S4_PS1_21rocsparse_index_base_,"axG",@progbits,_ZN9rocsparseL14csr2coo_kernelILj256ELj16EliEEvT2_PKT1_S4_PS1_21rocsparse_index_base_,comdat
.Lfunc_end11:
	.size	_ZN9rocsparseL14csr2coo_kernelILj256ELj16EliEEvT2_PKT1_S4_PS1_21rocsparse_index_base_, .Lfunc_end11-_ZN9rocsparseL14csr2coo_kernelILj256ELj16EliEEvT2_PKT1_S4_PS1_21rocsparse_index_base_
                                        ; -- End function
	.set _ZN9rocsparseL14csr2coo_kernelILj256ELj16EliEEvT2_PKT1_S4_PS1_21rocsparse_index_base_.num_vgpr, 11
	.set _ZN9rocsparseL14csr2coo_kernelILj256ELj16EliEEvT2_PKT1_S4_PS1_21rocsparse_index_base_.num_agpr, 0
	.set _ZN9rocsparseL14csr2coo_kernelILj256ELj16EliEEvT2_PKT1_S4_PS1_21rocsparse_index_base_.numbered_sgpr, 20
	.set _ZN9rocsparseL14csr2coo_kernelILj256ELj16EliEEvT2_PKT1_S4_PS1_21rocsparse_index_base_.num_named_barrier, 0
	.set _ZN9rocsparseL14csr2coo_kernelILj256ELj16EliEEvT2_PKT1_S4_PS1_21rocsparse_index_base_.private_seg_size, 0
	.set _ZN9rocsparseL14csr2coo_kernelILj256ELj16EliEEvT2_PKT1_S4_PS1_21rocsparse_index_base_.uses_vcc, 1
	.set _ZN9rocsparseL14csr2coo_kernelILj256ELj16EliEEvT2_PKT1_S4_PS1_21rocsparse_index_base_.uses_flat_scratch, 0
	.set _ZN9rocsparseL14csr2coo_kernelILj256ELj16EliEEvT2_PKT1_S4_PS1_21rocsparse_index_base_.has_dyn_sized_stack, 0
	.set _ZN9rocsparseL14csr2coo_kernelILj256ELj16EliEEvT2_PKT1_S4_PS1_21rocsparse_index_base_.has_recursion, 0
	.set _ZN9rocsparseL14csr2coo_kernelILj256ELj16EliEEvT2_PKT1_S4_PS1_21rocsparse_index_base_.has_indirect_call, 0
	.section	.AMDGPU.csdata,"",@progbits
; Kernel info:
; codeLenInByte = 4504
; TotalNumSgprs: 24
; NumVgprs: 11
; ScratchSize: 0
; MemoryBound: 0
; FloatMode: 240
; IeeeMode: 1
; LDSByteSize: 68 bytes/workgroup (compile time only)
; SGPRBlocks: 2
; VGPRBlocks: 2
; NumSGPRsForWavesPerEU: 24
; NumVGPRsForWavesPerEU: 11
; Occupancy: 10
; WaveLimiterHint : 0
; COMPUTE_PGM_RSRC2:SCRATCH_EN: 0
; COMPUTE_PGM_RSRC2:USER_SGPR: 6
; COMPUTE_PGM_RSRC2:TRAP_HANDLER: 0
; COMPUTE_PGM_RSRC2:TGID_X_EN: 1
; COMPUTE_PGM_RSRC2:TGID_Y_EN: 0
; COMPUTE_PGM_RSRC2:TGID_Z_EN: 0
; COMPUTE_PGM_RSRC2:TIDIG_COMP_CNT: 0
	.section	.text._ZN9rocsparseL14csr2coo_kernelILj256ELj32EliEEvT2_PKT1_S4_PS1_21rocsparse_index_base_,"axG",@progbits,_ZN9rocsparseL14csr2coo_kernelILj256ELj32EliEEvT2_PKT1_S4_PS1_21rocsparse_index_base_,comdat
	.globl	_ZN9rocsparseL14csr2coo_kernelILj256ELj32EliEEvT2_PKT1_S4_PS1_21rocsparse_index_base_ ; -- Begin function _ZN9rocsparseL14csr2coo_kernelILj256ELj32EliEEvT2_PKT1_S4_PS1_21rocsparse_index_base_
	.p2align	8
	.type	_ZN9rocsparseL14csr2coo_kernelILj256ELj32EliEEvT2_PKT1_S4_PS1_21rocsparse_index_base_,@function
_ZN9rocsparseL14csr2coo_kernelILj256ELj32EliEEvT2_PKT1_S4_PS1_21rocsparse_index_base_: ; @_ZN9rocsparseL14csr2coo_kernelILj256ELj32EliEEvT2_PKT1_S4_PS1_21rocsparse_index_base_
; %bb.0:
	s_load_dword s19, s[4:5], 0x0
	s_load_dwordx4 s[8:11], s[4:5], 0x8
	s_load_dwordx2 s[12:13], s[4:5], 0x18
	s_load_dword s18, s[4:5], 0x20
	v_lshrrev_b32_e32 v8, 5, v0
	v_mov_b32_e32 v1, 1
	v_mov_b32_e32 v2, 0
	s_lshl_b32 s4, s6, 3
	ds_write_b32 v2, v1 offset:32
	v_or_b32_e32 v3, s4, v8
	v_mov_b32_e32 v1, 0
	v_mov_b32_e32 v5, 0
	s_waitcnt lgkmcnt(0)
	v_cmp_gt_i32_e32 vcc, s19, v3
	v_mov_b32_e32 v2, 0
	v_mov_b32_e32 v6, 0
	v_ashrrev_i32_e32 v4, 31, v3
	s_barrier
	s_and_saveexec_b64 s[2:3], vcc
	s_cbranch_execz .LBB12_2
; %bb.1:
	v_lshlrev_b64 v[5:6], 3, v[3:4]
	v_mov_b32_e32 v7, s9
	v_add_co_u32_e64 v5, s[0:1], s8, v5
	v_addc_co_u32_e64 v6, s[0:1], v7, v6, s[0:1]
	global_load_dwordx2 v[5:6], v[5:6], off
	s_waitcnt vmcnt(0)
	v_subrev_co_u32_e64 v5, s[0:1], s18, v5
	v_subbrev_co_u32_e64 v6, s[0:1], 0, v6, s[0:1]
.LBB12_2:
	s_or_b64 exec, exec, s[2:3]
	s_and_saveexec_b64 s[0:1], vcc
	s_cbranch_execz .LBB12_4
; %bb.3:
	v_lshlrev_b64 v[1:2], 3, v[3:4]
	v_mov_b32_e32 v4, s11
	v_add_co_u32_e32 v1, vcc, s10, v1
	v_addc_co_u32_e32 v2, vcc, v4, v2, vcc
	global_load_dwordx2 v[1:2], v[1:2], off
	s_waitcnt vmcnt(0)
	v_subrev_co_u32_e32 v1, vcc, s18, v1
	v_subbrev_co_u32_e32 v2, vcc, 0, v2, vcc
.LBB12_4:
	s_or_b64 exec, exec, s[0:1]
	v_sub_co_u32_e32 v9, vcc, v1, v5
	v_subb_co_u32_e32 v10, vcc, v2, v6, vcc
	s_mov_b64 s[0:1], 0x101
	s_mov_b64 s[2:3], 0x100
	v_cmp_gt_i64_e64 s[0:1], s[0:1], v[9:10]
	v_cmp_lt_i64_e32 vcc, s[2:3], v[9:10]
	s_and_saveexec_b64 s[2:3], vcc
	s_xor_b64 s[2:3], exec, s[2:3]
; %bb.5:
	v_mov_b32_e32 v1, 0
	ds_write_b32 v1, v1 offset:32
                                        ; implicit-def: $vgpr5_vgpr6
                                        ; implicit-def: $vgpr1_vgpr2
                                        ; implicit-def: $vgpr3
; %bb.6:
	s_andn2_saveexec_b64 s[6:7], s[2:3]
	s_cbranch_execz .LBB12_11
; %bb.7:
	v_and_b32_e32 v4, 31, v0
	v_add_co_u32_e32 v4, vcc, v5, v4
	v_addc_co_u32_e32 v5, vcc, 0, v6, vcc
	v_cmp_lt_i64_e32 vcc, v[4:5], v[1:2]
	s_and_saveexec_b64 s[14:15], vcc
	s_cbranch_execz .LBB12_10
; %bb.8:
	v_lshlrev_b64 v[6:7], 2, v[4:5]
	v_mov_b32_e32 v9, s13
	v_add_co_u32_e32 v6, vcc, s12, v6
	v_add_u32_e32 v3, s18, v3
	v_addc_co_u32_e32 v7, vcc, v9, v7, vcc
	s_mov_b64 s[16:17], 0
.LBB12_9:                               ; =>This Inner Loop Header: Depth=1
	v_add_co_u32_e32 v4, vcc, 32, v4
	v_addc_co_u32_e32 v5, vcc, 0, v5, vcc
	v_cmp_ge_i64_e64 s[2:3], v[4:5], v[1:2]
	global_store_dword v[6:7], v3, off
	v_add_co_u32_e32 v6, vcc, 0x80, v6
	s_or_b64 s[16:17], s[2:3], s[16:17]
	v_addc_co_u32_e32 v7, vcc, 0, v7, vcc
	s_andn2_b64 exec, exec, s[16:17]
	s_cbranch_execnz .LBB12_9
.LBB12_10:
	s_or_b64 exec, exec, s[14:15]
.LBB12_11:
	s_or_b64 exec, exec, s[6:7]
	v_cndmask_b32_e64 v1, 0, 1, s[0:1]
	v_lshlrev_b32_e32 v2, 2, v8
	ds_write_b32 v2, v1
	v_mov_b32_e32 v1, 0
	s_waitcnt vmcnt(0) lgkmcnt(0)
	s_barrier
	ds_read_b32 v2, v1 offset:32
	s_waitcnt lgkmcnt(0)
	v_cmp_ne_u32_e32 vcc, 0, v2
	s_cbranch_vccnz .LBB12_83
; %bb.12:
	ds_read_b32 v1, v1
	s_waitcnt lgkmcnt(0)
	v_cmp_ne_u32_e32 vcc, 0, v1
	s_cbranch_vccnz .LBB12_21
; %bb.13:
	s_cmp_lt_i32 s4, s19
	s_mov_b64 s[2:3], 0
	s_cselect_b64 s[6:7], -1, 0
	s_cmp_ge_i32 s4, s19
	s_mov_b64 s[0:1], 0
	s_cbranch_scc1 .LBB12_15
; %bb.14:
	s_ashr_i32 s5, s4, 31
	s_lshl_b64 s[0:1], s[4:5], 3
	s_add_u32 s0, s8, s0
	s_addc_u32 s1, s9, s1
	s_load_dwordx2 s[0:1], s[0:1], 0x0
	s_waitcnt lgkmcnt(0)
	s_sub_u32 s0, s0, s18
	s_subb_u32 s1, s1, 0
.LBB12_15:
	s_andn2_b64 vcc, exec, s[6:7]
	s_cbranch_vccnz .LBB12_17
; %bb.16:
	s_ashr_i32 s5, s4, 31
	s_lshl_b64 s[2:3], s[4:5], 3
	s_add_u32 s2, s10, s2
	s_addc_u32 s3, s11, s3
	s_load_dwordx2 s[2:3], s[2:3], 0x0
	s_waitcnt lgkmcnt(0)
	s_sub_u32 s2, s2, s18
	s_subb_u32 s3, s3, 0
.LBB12_17:
	v_mov_b32_e32 v2, s1
	v_add_co_u32_e32 v1, vcc, s0, v0
	v_addc_co_u32_e32 v2, vcc, 0, v2, vcc
	v_cmp_gt_i64_e32 vcc, s[2:3], v[1:2]
	s_and_saveexec_b64 s[6:7], vcc
	s_cbranch_execz .LBB12_20
; %bb.18:
	v_lshlrev_b64 v[3:4], 2, v[1:2]
	s_add_i32 s0, s4, s18
	v_mov_b32_e32 v5, s13
	v_add_co_u32_e32 v3, vcc, s12, v3
	v_addc_co_u32_e32 v4, vcc, v5, v4, vcc
	s_mov_b64 s[14:15], 0
	v_mov_b32_e32 v5, s0
.LBB12_19:                              ; =>This Inner Loop Header: Depth=1
	v_add_co_u32_e32 v1, vcc, 0x100, v1
	v_addc_co_u32_e32 v2, vcc, 0, v2, vcc
	v_cmp_le_i64_e64 s[0:1], s[2:3], v[1:2]
	global_store_dword v[3:4], v5, off
	v_add_co_u32_e32 v3, vcc, 0x400, v3
	s_or_b64 s[14:15], s[0:1], s[14:15]
	v_addc_co_u32_e32 v4, vcc, 0, v4, vcc
	s_andn2_b64 exec, exec, s[14:15]
	s_cbranch_execnz .LBB12_19
.LBB12_20:
	s_or_b64 exec, exec, s[6:7]
.LBB12_21:
	v_mov_b32_e32 v5, 0
	ds_read_b32 v1, v5 offset:4
	s_waitcnt lgkmcnt(0)
	v_cmp_ne_u32_e32 vcc, 0, v1
	s_cbranch_vccz .LBB12_23
; %bb.22:
	ds_read_b32 v1, v5 offset:8
	s_waitcnt lgkmcnt(0)
	v_cmp_ne_u32_e32 vcc, 0, v1
	s_cbranch_vccnz .LBB12_39
	s_branch .LBB12_31
.LBB12_23:
	s_or_b32 s14, s4, 1
	s_cmp_lt_i32 s14, s19
	s_mov_b64 s[2:3], 0
	s_cselect_b64 s[6:7], -1, 0
	s_cmp_ge_i32 s14, s19
	s_mov_b64 s[0:1], 0
	s_cbranch_scc1 .LBB12_25
; %bb.24:
	s_ashr_i32 s5, s4, 31
	s_lshl_b64 s[0:1], s[4:5], 3
	s_add_u32 s0, s8, s0
	s_addc_u32 s1, s9, s1
	s_load_dwordx2 s[0:1], s[0:1], 0x8
	s_waitcnt lgkmcnt(0)
	s_sub_u32 s0, s0, s18
	s_subb_u32 s1, s1, 0
.LBB12_25:
	s_andn2_b64 vcc, exec, s[6:7]
	s_cbranch_vccnz .LBB12_27
; %bb.26:
	s_ashr_i32 s5, s4, 31
	s_lshl_b64 s[2:3], s[4:5], 3
	s_add_u32 s2, s10, s2
	s_addc_u32 s3, s11, s3
	s_load_dwordx2 s[2:3], s[2:3], 0x8
	s_waitcnt lgkmcnt(0)
	s_sub_u32 s2, s2, s18
	s_subb_u32 s3, s3, 0
.LBB12_27:
	v_mov_b32_e32 v2, s1
	v_add_co_u32_e32 v1, vcc, s0, v0
	v_addc_co_u32_e32 v2, vcc, 0, v2, vcc
	v_cmp_gt_i64_e32 vcc, s[2:3], v[1:2]
	s_and_saveexec_b64 s[6:7], vcc
	s_cbranch_execz .LBB12_30
; %bb.28:
	v_lshlrev_b64 v[3:4], 2, v[1:2]
	s_add_i32 s0, s14, s18
	v_mov_b32_e32 v6, s13
	v_add_co_u32_e32 v3, vcc, s12, v3
	v_addc_co_u32_e32 v4, vcc, v6, v4, vcc
	s_mov_b64 s[14:15], 0
	v_mov_b32_e32 v6, s0
.LBB12_29:                              ; =>This Inner Loop Header: Depth=1
	v_add_co_u32_e32 v1, vcc, 0x100, v1
	v_addc_co_u32_e32 v2, vcc, 0, v2, vcc
	v_cmp_le_i64_e64 s[0:1], s[2:3], v[1:2]
	global_store_dword v[3:4], v6, off
	v_add_co_u32_e32 v3, vcc, 0x400, v3
	s_or_b64 s[14:15], s[0:1], s[14:15]
	v_addc_co_u32_e32 v4, vcc, 0, v4, vcc
	s_andn2_b64 exec, exec, s[14:15]
	s_cbranch_execnz .LBB12_29
.LBB12_30:
	s_or_b64 exec, exec, s[6:7]
	ds_read_b32 v1, v5 offset:8
	s_waitcnt lgkmcnt(0)
	v_cmp_ne_u32_e32 vcc, 0, v1
	s_cbranch_vccnz .LBB12_39
.LBB12_31:
	s_or_b32 s14, s4, 2
	s_cmp_lt_i32 s14, s19
	s_mov_b64 s[2:3], 0
	s_cselect_b64 s[6:7], -1, 0
	s_cmp_ge_i32 s14, s19
	s_mov_b64 s[0:1], 0
	s_cbranch_scc1 .LBB12_33
; %bb.32:
	s_ashr_i32 s5, s4, 31
	s_lshl_b64 s[0:1], s[4:5], 3
	s_add_u32 s0, s8, s0
	s_addc_u32 s1, s9, s1
	s_load_dwordx2 s[0:1], s[0:1], 0x10
	s_waitcnt lgkmcnt(0)
	s_sub_u32 s0, s0, s18
	s_subb_u32 s1, s1, 0
.LBB12_33:
	s_andn2_b64 vcc, exec, s[6:7]
	s_cbranch_vccnz .LBB12_35
; %bb.34:
	s_ashr_i32 s5, s4, 31
	s_lshl_b64 s[2:3], s[4:5], 3
	s_add_u32 s2, s10, s2
	s_addc_u32 s3, s11, s3
	s_load_dwordx2 s[2:3], s[2:3], 0x10
	s_waitcnt lgkmcnt(0)
	s_sub_u32 s2, s2, s18
	s_subb_u32 s3, s3, 0
.LBB12_35:
	v_mov_b32_e32 v2, s1
	v_add_co_u32_e32 v1, vcc, s0, v0
	v_addc_co_u32_e32 v2, vcc, 0, v2, vcc
	v_cmp_gt_i64_e32 vcc, s[2:3], v[1:2]
	s_and_saveexec_b64 s[6:7], vcc
	s_cbranch_execz .LBB12_38
; %bb.36:
	v_lshlrev_b64 v[3:4], 2, v[1:2]
	s_add_i32 s0, s14, s18
	v_mov_b32_e32 v5, s13
	v_add_co_u32_e32 v3, vcc, s12, v3
	v_addc_co_u32_e32 v4, vcc, v5, v4, vcc
	s_mov_b64 s[14:15], 0
	v_mov_b32_e32 v5, s0
.LBB12_37:                              ; =>This Inner Loop Header: Depth=1
	v_add_co_u32_e32 v1, vcc, 0x100, v1
	v_addc_co_u32_e32 v2, vcc, 0, v2, vcc
	v_cmp_le_i64_e64 s[0:1], s[2:3], v[1:2]
	global_store_dword v[3:4], v5, off
	v_add_co_u32_e32 v3, vcc, 0x400, v3
	s_or_b64 s[14:15], s[0:1], s[14:15]
	v_addc_co_u32_e32 v4, vcc, 0, v4, vcc
	s_andn2_b64 exec, exec, s[14:15]
	s_cbranch_execnz .LBB12_37
.LBB12_38:
	s_or_b64 exec, exec, s[6:7]
.LBB12_39:
	v_mov_b32_e32 v5, 0
	ds_read_b32 v1, v5 offset:12
	s_waitcnt lgkmcnt(0)
	v_cmp_ne_u32_e32 vcc, 0, v1
	s_cbranch_vccz .LBB12_41
; %bb.40:
	ds_read_b32 v1, v5 offset:16
	s_waitcnt lgkmcnt(0)
	v_cmp_ne_u32_e32 vcc, 0, v1
	s_cbranch_vccnz .LBB12_57
	s_branch .LBB12_49
.LBB12_41:
	s_or_b32 s14, s4, 3
	s_cmp_lt_i32 s14, s19
	s_mov_b64 s[2:3], 0
	s_cselect_b64 s[6:7], -1, 0
	s_cmp_ge_i32 s14, s19
	s_mov_b64 s[0:1], 0
	s_cbranch_scc1 .LBB12_43
; %bb.42:
	s_ashr_i32 s5, s4, 31
	s_lshl_b64 s[0:1], s[4:5], 3
	s_add_u32 s0, s8, s0
	s_addc_u32 s1, s9, s1
	s_load_dwordx2 s[0:1], s[0:1], 0x18
	s_waitcnt lgkmcnt(0)
	s_sub_u32 s0, s0, s18
	s_subb_u32 s1, s1, 0
.LBB12_43:
	s_andn2_b64 vcc, exec, s[6:7]
	s_cbranch_vccnz .LBB12_45
; %bb.44:
	s_ashr_i32 s5, s4, 31
	s_lshl_b64 s[2:3], s[4:5], 3
	s_add_u32 s2, s10, s2
	s_addc_u32 s3, s11, s3
	s_load_dwordx2 s[2:3], s[2:3], 0x18
	s_waitcnt lgkmcnt(0)
	s_sub_u32 s2, s2, s18
	s_subb_u32 s3, s3, 0
.LBB12_45:
	v_mov_b32_e32 v2, s1
	v_add_co_u32_e32 v1, vcc, s0, v0
	v_addc_co_u32_e32 v2, vcc, 0, v2, vcc
	v_cmp_gt_i64_e32 vcc, s[2:3], v[1:2]
	s_and_saveexec_b64 s[6:7], vcc
	s_cbranch_execz .LBB12_48
; %bb.46:
	v_lshlrev_b64 v[3:4], 2, v[1:2]
	s_add_i32 s0, s14, s18
	v_mov_b32_e32 v6, s13
	v_add_co_u32_e32 v3, vcc, s12, v3
	v_addc_co_u32_e32 v4, vcc, v6, v4, vcc
	s_mov_b64 s[14:15], 0
	v_mov_b32_e32 v6, s0
.LBB12_47:                              ; =>This Inner Loop Header: Depth=1
	v_add_co_u32_e32 v1, vcc, 0x100, v1
	v_addc_co_u32_e32 v2, vcc, 0, v2, vcc
	v_cmp_le_i64_e64 s[0:1], s[2:3], v[1:2]
	global_store_dword v[3:4], v6, off
	v_add_co_u32_e32 v3, vcc, 0x400, v3
	s_or_b64 s[14:15], s[0:1], s[14:15]
	v_addc_co_u32_e32 v4, vcc, 0, v4, vcc
	s_andn2_b64 exec, exec, s[14:15]
	s_cbranch_execnz .LBB12_47
.LBB12_48:
	s_or_b64 exec, exec, s[6:7]
	ds_read_b32 v1, v5 offset:16
	s_waitcnt lgkmcnt(0)
	v_cmp_ne_u32_e32 vcc, 0, v1
	s_cbranch_vccnz .LBB12_57
.LBB12_49:
	s_or_b32 s14, s4, 4
	s_cmp_lt_i32 s14, s19
	s_mov_b64 s[2:3], 0
	s_cselect_b64 s[6:7], -1, 0
	s_cmp_ge_i32 s14, s19
	s_mov_b64 s[0:1], 0
	s_cbranch_scc1 .LBB12_51
; %bb.50:
	s_ashr_i32 s5, s4, 31
	s_lshl_b64 s[0:1], s[4:5], 3
	s_add_u32 s0, s8, s0
	s_addc_u32 s1, s9, s1
	s_load_dwordx2 s[0:1], s[0:1], 0x20
	s_waitcnt lgkmcnt(0)
	s_sub_u32 s0, s0, s18
	s_subb_u32 s1, s1, 0
.LBB12_51:
	s_andn2_b64 vcc, exec, s[6:7]
	s_cbranch_vccnz .LBB12_53
; %bb.52:
	s_ashr_i32 s5, s4, 31
	s_lshl_b64 s[2:3], s[4:5], 3
	s_add_u32 s2, s10, s2
	s_addc_u32 s3, s11, s3
	s_load_dwordx2 s[2:3], s[2:3], 0x20
	s_waitcnt lgkmcnt(0)
	s_sub_u32 s2, s2, s18
	s_subb_u32 s3, s3, 0
.LBB12_53:
	v_mov_b32_e32 v2, s1
	v_add_co_u32_e32 v1, vcc, s0, v0
	v_addc_co_u32_e32 v2, vcc, 0, v2, vcc
	v_cmp_gt_i64_e32 vcc, s[2:3], v[1:2]
	s_and_saveexec_b64 s[6:7], vcc
	s_cbranch_execz .LBB12_56
; %bb.54:
	v_lshlrev_b64 v[3:4], 2, v[1:2]
	s_add_i32 s0, s14, s18
	v_mov_b32_e32 v5, s13
	v_add_co_u32_e32 v3, vcc, s12, v3
	v_addc_co_u32_e32 v4, vcc, v5, v4, vcc
	s_mov_b64 s[14:15], 0
	v_mov_b32_e32 v5, s0
.LBB12_55:                              ; =>This Inner Loop Header: Depth=1
	v_add_co_u32_e32 v1, vcc, 0x100, v1
	v_addc_co_u32_e32 v2, vcc, 0, v2, vcc
	v_cmp_le_i64_e64 s[0:1], s[2:3], v[1:2]
	global_store_dword v[3:4], v5, off
	v_add_co_u32_e32 v3, vcc, 0x400, v3
	s_or_b64 s[14:15], s[0:1], s[14:15]
	v_addc_co_u32_e32 v4, vcc, 0, v4, vcc
	s_andn2_b64 exec, exec, s[14:15]
	s_cbranch_execnz .LBB12_55
.LBB12_56:
	s_or_b64 exec, exec, s[6:7]
.LBB12_57:
	v_mov_b32_e32 v5, 0
	ds_read_b32 v1, v5 offset:20
	s_waitcnt lgkmcnt(0)
	v_cmp_ne_u32_e32 vcc, 0, v1
	s_cbranch_vccz .LBB12_59
; %bb.58:
	ds_read_b32 v1, v5 offset:24
	s_waitcnt lgkmcnt(0)
	v_cmp_ne_u32_e32 vcc, 0, v1
	s_cbranch_vccnz .LBB12_75
	s_branch .LBB12_67
.LBB12_59:
	s_or_b32 s14, s4, 5
	s_cmp_lt_i32 s14, s19
	s_mov_b64 s[2:3], 0
	s_cselect_b64 s[6:7], -1, 0
	s_cmp_ge_i32 s14, s19
	s_mov_b64 s[0:1], 0
	s_cbranch_scc1 .LBB12_61
; %bb.60:
	s_ashr_i32 s5, s4, 31
	s_lshl_b64 s[0:1], s[4:5], 3
	s_add_u32 s0, s8, s0
	s_addc_u32 s1, s9, s1
	s_load_dwordx2 s[0:1], s[0:1], 0x28
	s_waitcnt lgkmcnt(0)
	s_sub_u32 s0, s0, s18
	s_subb_u32 s1, s1, 0
.LBB12_61:
	s_andn2_b64 vcc, exec, s[6:7]
	s_cbranch_vccnz .LBB12_63
; %bb.62:
	s_ashr_i32 s5, s4, 31
	s_lshl_b64 s[2:3], s[4:5], 3
	s_add_u32 s2, s10, s2
	s_addc_u32 s3, s11, s3
	s_load_dwordx2 s[2:3], s[2:3], 0x28
	s_waitcnt lgkmcnt(0)
	s_sub_u32 s2, s2, s18
	s_subb_u32 s3, s3, 0
.LBB12_63:
	v_mov_b32_e32 v2, s1
	v_add_co_u32_e32 v1, vcc, s0, v0
	v_addc_co_u32_e32 v2, vcc, 0, v2, vcc
	v_cmp_gt_i64_e32 vcc, s[2:3], v[1:2]
	s_and_saveexec_b64 s[6:7], vcc
	s_cbranch_execz .LBB12_66
; %bb.64:
	v_lshlrev_b64 v[3:4], 2, v[1:2]
	s_add_i32 s0, s14, s18
	v_mov_b32_e32 v6, s13
	v_add_co_u32_e32 v3, vcc, s12, v3
	v_addc_co_u32_e32 v4, vcc, v6, v4, vcc
	s_mov_b64 s[14:15], 0
	v_mov_b32_e32 v6, s0
.LBB12_65:                              ; =>This Inner Loop Header: Depth=1
	v_add_co_u32_e32 v1, vcc, 0x100, v1
	v_addc_co_u32_e32 v2, vcc, 0, v2, vcc
	v_cmp_le_i64_e64 s[0:1], s[2:3], v[1:2]
	global_store_dword v[3:4], v6, off
	v_add_co_u32_e32 v3, vcc, 0x400, v3
	s_or_b64 s[14:15], s[0:1], s[14:15]
	v_addc_co_u32_e32 v4, vcc, 0, v4, vcc
	s_andn2_b64 exec, exec, s[14:15]
	s_cbranch_execnz .LBB12_65
.LBB12_66:
	s_or_b64 exec, exec, s[6:7]
	ds_read_b32 v1, v5 offset:24
	s_waitcnt lgkmcnt(0)
	v_cmp_ne_u32_e32 vcc, 0, v1
	s_cbranch_vccnz .LBB12_75
.LBB12_67:
	s_or_b32 s14, s4, 6
	s_cmp_lt_i32 s14, s19
	s_mov_b64 s[2:3], 0
	s_cselect_b64 s[6:7], -1, 0
	s_cmp_ge_i32 s14, s19
	s_mov_b64 s[0:1], 0
	s_cbranch_scc1 .LBB12_69
; %bb.68:
	s_ashr_i32 s5, s4, 31
	s_lshl_b64 s[0:1], s[4:5], 3
	s_add_u32 s0, s8, s0
	s_addc_u32 s1, s9, s1
	s_load_dwordx2 s[0:1], s[0:1], 0x30
	s_waitcnt lgkmcnt(0)
	s_sub_u32 s0, s0, s18
	s_subb_u32 s1, s1, 0
.LBB12_69:
	s_andn2_b64 vcc, exec, s[6:7]
	s_cbranch_vccnz .LBB12_71
; %bb.70:
	s_ashr_i32 s5, s4, 31
	s_lshl_b64 s[2:3], s[4:5], 3
	s_add_u32 s2, s10, s2
	s_addc_u32 s3, s11, s3
	s_load_dwordx2 s[2:3], s[2:3], 0x30
	s_waitcnt lgkmcnt(0)
	s_sub_u32 s2, s2, s18
	s_subb_u32 s3, s3, 0
.LBB12_71:
	v_mov_b32_e32 v2, s1
	v_add_co_u32_e32 v1, vcc, s0, v0
	v_addc_co_u32_e32 v2, vcc, 0, v2, vcc
	v_cmp_gt_i64_e32 vcc, s[2:3], v[1:2]
	s_and_saveexec_b64 s[6:7], vcc
	s_cbranch_execz .LBB12_74
; %bb.72:
	v_lshlrev_b64 v[3:4], 2, v[1:2]
	s_add_i32 s0, s14, s18
	v_mov_b32_e32 v5, s13
	v_add_co_u32_e32 v3, vcc, s12, v3
	v_addc_co_u32_e32 v4, vcc, v5, v4, vcc
	s_mov_b64 s[14:15], 0
	v_mov_b32_e32 v5, s0
.LBB12_73:                              ; =>This Inner Loop Header: Depth=1
	v_add_co_u32_e32 v1, vcc, 0x100, v1
	v_addc_co_u32_e32 v2, vcc, 0, v2, vcc
	v_cmp_le_i64_e64 s[0:1], s[2:3], v[1:2]
	global_store_dword v[3:4], v5, off
	v_add_co_u32_e32 v3, vcc, 0x400, v3
	s_or_b64 s[14:15], s[0:1], s[14:15]
	v_addc_co_u32_e32 v4, vcc, 0, v4, vcc
	s_andn2_b64 exec, exec, s[14:15]
	s_cbranch_execnz .LBB12_73
.LBB12_74:
	s_or_b64 exec, exec, s[6:7]
.LBB12_75:
	v_mov_b32_e32 v1, 0
	ds_read_b32 v1, v1 offset:28
	s_waitcnt lgkmcnt(0)
	v_cmp_ne_u32_e32 vcc, 0, v1
	s_cbranch_vccnz .LBB12_83
; %bb.76:
	s_or_b32 s14, s4, 7
	s_cmp_lt_i32 s14, s19
	s_mov_b64 s[2:3], 0
	s_cselect_b64 s[6:7], -1, 0
	s_cmp_ge_i32 s14, s19
	s_mov_b64 s[0:1], 0
	s_cbranch_scc1 .LBB12_78
; %bb.77:
	s_ashr_i32 s5, s4, 31
	s_lshl_b64 s[0:1], s[4:5], 3
	s_add_u32 s0, s8, s0
	s_addc_u32 s1, s9, s1
	s_load_dwordx2 s[0:1], s[0:1], 0x38
	s_waitcnt lgkmcnt(0)
	s_sub_u32 s0, s0, s18
	s_subb_u32 s1, s1, 0
.LBB12_78:
	s_andn2_b64 vcc, exec, s[6:7]
	s_cbranch_vccnz .LBB12_80
; %bb.79:
	s_ashr_i32 s5, s4, 31
	s_lshl_b64 s[2:3], s[4:5], 3
	s_add_u32 s2, s10, s2
	s_addc_u32 s3, s11, s3
	s_load_dwordx2 s[2:3], s[2:3], 0x38
	s_waitcnt lgkmcnt(0)
	s_sub_u32 s2, s2, s18
	s_subb_u32 s3, s3, 0
.LBB12_80:
	v_mov_b32_e32 v1, s1
	v_add_co_u32_e32 v0, vcc, s0, v0
	v_addc_co_u32_e32 v1, vcc, 0, v1, vcc
	v_cmp_gt_i64_e32 vcc, s[2:3], v[0:1]
	s_and_saveexec_b64 s[0:1], vcc
	s_cbranch_execz .LBB12_83
; %bb.81:
	v_lshlrev_b64 v[2:3], 2, v[0:1]
	s_add_i32 s0, s14, s18
	v_mov_b32_e32 v4, s13
	v_add_co_u32_e32 v2, vcc, s12, v2
	v_addc_co_u32_e32 v3, vcc, v4, v3, vcc
	s_mov_b64 s[4:5], 0
	v_mov_b32_e32 v4, s0
.LBB12_82:                              ; =>This Inner Loop Header: Depth=1
	v_add_co_u32_e32 v0, vcc, 0x100, v0
	v_addc_co_u32_e32 v1, vcc, 0, v1, vcc
	v_cmp_le_i64_e64 s[0:1], s[2:3], v[0:1]
	global_store_dword v[2:3], v4, off
	v_add_co_u32_e32 v2, vcc, 0x400, v2
	s_or_b64 s[4:5], s[0:1], s[4:5]
	v_addc_co_u32_e32 v3, vcc, 0, v3, vcc
	s_andn2_b64 exec, exec, s[4:5]
	s_cbranch_execnz .LBB12_82
.LBB12_83:
	s_endpgm
	.section	.rodata,"a",@progbits
	.p2align	6, 0x0
	.amdhsa_kernel _ZN9rocsparseL14csr2coo_kernelILj256ELj32EliEEvT2_PKT1_S4_PS1_21rocsparse_index_base_
		.amdhsa_group_segment_fixed_size 36
		.amdhsa_private_segment_fixed_size 0
		.amdhsa_kernarg_size 36
		.amdhsa_user_sgpr_count 6
		.amdhsa_user_sgpr_private_segment_buffer 1
		.amdhsa_user_sgpr_dispatch_ptr 0
		.amdhsa_user_sgpr_queue_ptr 0
		.amdhsa_user_sgpr_kernarg_segment_ptr 1
		.amdhsa_user_sgpr_dispatch_id 0
		.amdhsa_user_sgpr_flat_scratch_init 0
		.amdhsa_user_sgpr_private_segment_size 0
		.amdhsa_uses_dynamic_stack 0
		.amdhsa_system_sgpr_private_segment_wavefront_offset 0
		.amdhsa_system_sgpr_workgroup_id_x 1
		.amdhsa_system_sgpr_workgroup_id_y 0
		.amdhsa_system_sgpr_workgroup_id_z 0
		.amdhsa_system_sgpr_workgroup_info 0
		.amdhsa_system_vgpr_workitem_id 0
		.amdhsa_next_free_vgpr 11
		.amdhsa_next_free_sgpr 20
		.amdhsa_reserve_vcc 1
		.amdhsa_reserve_flat_scratch 0
		.amdhsa_float_round_mode_32 0
		.amdhsa_float_round_mode_16_64 0
		.amdhsa_float_denorm_mode_32 3
		.amdhsa_float_denorm_mode_16_64 3
		.amdhsa_dx10_clamp 1
		.amdhsa_ieee_mode 1
		.amdhsa_fp16_overflow 0
		.amdhsa_exception_fp_ieee_invalid_op 0
		.amdhsa_exception_fp_denorm_src 0
		.amdhsa_exception_fp_ieee_div_zero 0
		.amdhsa_exception_fp_ieee_overflow 0
		.amdhsa_exception_fp_ieee_underflow 0
		.amdhsa_exception_fp_ieee_inexact 0
		.amdhsa_exception_int_div_zero 0
	.end_amdhsa_kernel
	.section	.text._ZN9rocsparseL14csr2coo_kernelILj256ELj32EliEEvT2_PKT1_S4_PS1_21rocsparse_index_base_,"axG",@progbits,_ZN9rocsparseL14csr2coo_kernelILj256ELj32EliEEvT2_PKT1_S4_PS1_21rocsparse_index_base_,comdat
.Lfunc_end12:
	.size	_ZN9rocsparseL14csr2coo_kernelILj256ELj32EliEEvT2_PKT1_S4_PS1_21rocsparse_index_base_, .Lfunc_end12-_ZN9rocsparseL14csr2coo_kernelILj256ELj32EliEEvT2_PKT1_S4_PS1_21rocsparse_index_base_
                                        ; -- End function
	.set _ZN9rocsparseL14csr2coo_kernelILj256ELj32EliEEvT2_PKT1_S4_PS1_21rocsparse_index_base_.num_vgpr, 11
	.set _ZN9rocsparseL14csr2coo_kernelILj256ELj32EliEEvT2_PKT1_S4_PS1_21rocsparse_index_base_.num_agpr, 0
	.set _ZN9rocsparseL14csr2coo_kernelILj256ELj32EliEEvT2_PKT1_S4_PS1_21rocsparse_index_base_.numbered_sgpr, 20
	.set _ZN9rocsparseL14csr2coo_kernelILj256ELj32EliEEvT2_PKT1_S4_PS1_21rocsparse_index_base_.num_named_barrier, 0
	.set _ZN9rocsparseL14csr2coo_kernelILj256ELj32EliEEvT2_PKT1_S4_PS1_21rocsparse_index_base_.private_seg_size, 0
	.set _ZN9rocsparseL14csr2coo_kernelILj256ELj32EliEEvT2_PKT1_S4_PS1_21rocsparse_index_base_.uses_vcc, 1
	.set _ZN9rocsparseL14csr2coo_kernelILj256ELj32EliEEvT2_PKT1_S4_PS1_21rocsparse_index_base_.uses_flat_scratch, 0
	.set _ZN9rocsparseL14csr2coo_kernelILj256ELj32EliEEvT2_PKT1_S4_PS1_21rocsparse_index_base_.has_dyn_sized_stack, 0
	.set _ZN9rocsparseL14csr2coo_kernelILj256ELj32EliEEvT2_PKT1_S4_PS1_21rocsparse_index_base_.has_recursion, 0
	.set _ZN9rocsparseL14csr2coo_kernelILj256ELj32EliEEvT2_PKT1_S4_PS1_21rocsparse_index_base_.has_indirect_call, 0
	.section	.AMDGPU.csdata,"",@progbits
; Kernel info:
; codeLenInByte = 2440
; TotalNumSgprs: 24
; NumVgprs: 11
; ScratchSize: 0
; MemoryBound: 0
; FloatMode: 240
; IeeeMode: 1
; LDSByteSize: 36 bytes/workgroup (compile time only)
; SGPRBlocks: 2
; VGPRBlocks: 2
; NumSGPRsForWavesPerEU: 24
; NumVGPRsForWavesPerEU: 11
; Occupancy: 10
; WaveLimiterHint : 0
; COMPUTE_PGM_RSRC2:SCRATCH_EN: 0
; COMPUTE_PGM_RSRC2:USER_SGPR: 6
; COMPUTE_PGM_RSRC2:TRAP_HANDLER: 0
; COMPUTE_PGM_RSRC2:TGID_X_EN: 1
; COMPUTE_PGM_RSRC2:TGID_Y_EN: 0
; COMPUTE_PGM_RSRC2:TGID_Z_EN: 0
; COMPUTE_PGM_RSRC2:TIDIG_COMP_CNT: 0
	.section	.text._ZN9rocsparseL14csr2coo_kernelILj256ELj64EliEEvT2_PKT1_S4_PS1_21rocsparse_index_base_,"axG",@progbits,_ZN9rocsparseL14csr2coo_kernelILj256ELj64EliEEvT2_PKT1_S4_PS1_21rocsparse_index_base_,comdat
	.globl	_ZN9rocsparseL14csr2coo_kernelILj256ELj64EliEEvT2_PKT1_S4_PS1_21rocsparse_index_base_ ; -- Begin function _ZN9rocsparseL14csr2coo_kernelILj256ELj64EliEEvT2_PKT1_S4_PS1_21rocsparse_index_base_
	.p2align	8
	.type	_ZN9rocsparseL14csr2coo_kernelILj256ELj64EliEEvT2_PKT1_S4_PS1_21rocsparse_index_base_,@function
_ZN9rocsparseL14csr2coo_kernelILj256ELj64EliEEvT2_PKT1_S4_PS1_21rocsparse_index_base_: ; @_ZN9rocsparseL14csr2coo_kernelILj256ELj64EliEEvT2_PKT1_S4_PS1_21rocsparse_index_base_
; %bb.0:
	s_load_dword s19, s[4:5], 0x0
	s_load_dwordx4 s[8:11], s[4:5], 0x8
	s_load_dwordx2 s[12:13], s[4:5], 0x18
	s_load_dword s18, s[4:5], 0x20
	v_lshrrev_b32_e32 v8, 6, v0
	v_mov_b32_e32 v1, 1
	v_mov_b32_e32 v2, 0
	s_lshl_b32 s4, s6, 2
	ds_write_b32 v2, v1 offset:16
	v_or_b32_e32 v3, s4, v8
	v_mov_b32_e32 v1, 0
	v_mov_b32_e32 v5, 0
	s_waitcnt lgkmcnt(0)
	v_cmp_gt_i32_e32 vcc, s19, v3
	v_mov_b32_e32 v2, 0
	v_mov_b32_e32 v6, 0
	v_ashrrev_i32_e32 v4, 31, v3
	s_barrier
	s_and_saveexec_b64 s[2:3], vcc
	s_cbranch_execz .LBB13_2
; %bb.1:
	v_lshlrev_b64 v[5:6], 3, v[3:4]
	v_mov_b32_e32 v7, s9
	v_add_co_u32_e64 v5, s[0:1], s8, v5
	v_addc_co_u32_e64 v6, s[0:1], v7, v6, s[0:1]
	global_load_dwordx2 v[5:6], v[5:6], off
	s_waitcnt vmcnt(0)
	v_subrev_co_u32_e64 v5, s[0:1], s18, v5
	v_subbrev_co_u32_e64 v6, s[0:1], 0, v6, s[0:1]
.LBB13_2:
	s_or_b64 exec, exec, s[2:3]
	s_and_saveexec_b64 s[0:1], vcc
	s_cbranch_execz .LBB13_4
; %bb.3:
	v_lshlrev_b64 v[1:2], 3, v[3:4]
	v_mov_b32_e32 v4, s11
	v_add_co_u32_e32 v1, vcc, s10, v1
	v_addc_co_u32_e32 v2, vcc, v4, v2, vcc
	global_load_dwordx2 v[1:2], v[1:2], off
	s_waitcnt vmcnt(0)
	v_subrev_co_u32_e32 v1, vcc, s18, v1
	v_subbrev_co_u32_e32 v2, vcc, 0, v2, vcc
.LBB13_4:
	s_or_b64 exec, exec, s[0:1]
	v_sub_co_u32_e32 v9, vcc, v1, v5
	v_subb_co_u32_e32 v10, vcc, v2, v6, vcc
	s_mov_b64 s[0:1], 0x201
	s_mov_b64 s[2:3], 0x200
	v_cmp_gt_i64_e64 s[0:1], s[0:1], v[9:10]
	v_cmp_lt_i64_e32 vcc, s[2:3], v[9:10]
	s_and_saveexec_b64 s[2:3], vcc
	s_xor_b64 s[2:3], exec, s[2:3]
; %bb.5:
	v_mov_b32_e32 v1, 0
	ds_write_b32 v1, v1 offset:16
                                        ; implicit-def: $vgpr5_vgpr6
                                        ; implicit-def: $vgpr1_vgpr2
                                        ; implicit-def: $vgpr3
; %bb.6:
	s_andn2_saveexec_b64 s[6:7], s[2:3]
	s_cbranch_execz .LBB13_11
; %bb.7:
	v_and_b32_e32 v4, 63, v0
	v_add_co_u32_e32 v4, vcc, v5, v4
	v_addc_co_u32_e32 v5, vcc, 0, v6, vcc
	v_cmp_lt_i64_e32 vcc, v[4:5], v[1:2]
	s_and_saveexec_b64 s[14:15], vcc
	s_cbranch_execz .LBB13_10
; %bb.8:
	v_lshlrev_b64 v[6:7], 2, v[4:5]
	v_mov_b32_e32 v9, s13
	v_add_co_u32_e32 v6, vcc, s12, v6
	v_add_u32_e32 v3, s18, v3
	v_addc_co_u32_e32 v7, vcc, v9, v7, vcc
	s_mov_b64 s[16:17], 0
.LBB13_9:                               ; =>This Inner Loop Header: Depth=1
	v_add_co_u32_e32 v4, vcc, 64, v4
	v_addc_co_u32_e32 v5, vcc, 0, v5, vcc
	v_cmp_ge_i64_e64 s[2:3], v[4:5], v[1:2]
	global_store_dword v[6:7], v3, off
	v_add_co_u32_e32 v6, vcc, 0x100, v6
	s_or_b64 s[16:17], s[2:3], s[16:17]
	v_addc_co_u32_e32 v7, vcc, 0, v7, vcc
	s_andn2_b64 exec, exec, s[16:17]
	s_cbranch_execnz .LBB13_9
.LBB13_10:
	s_or_b64 exec, exec, s[14:15]
.LBB13_11:
	s_or_b64 exec, exec, s[6:7]
	v_cndmask_b32_e64 v1, 0, 1, s[0:1]
	v_lshlrev_b32_e32 v2, 2, v8
	ds_write_b32 v2, v1
	v_mov_b32_e32 v1, 0
	s_waitcnt vmcnt(0) lgkmcnt(0)
	s_barrier
	ds_read_b32 v2, v1 offset:16
	s_waitcnt lgkmcnt(0)
	v_cmp_ne_u32_e32 vcc, 0, v2
	s_cbranch_vccnz .LBB13_47
; %bb.12:
	ds_read_b32 v1, v1
	s_waitcnt lgkmcnt(0)
	v_cmp_ne_u32_e32 vcc, 0, v1
	s_cbranch_vccnz .LBB13_21
; %bb.13:
	s_cmp_lt_i32 s4, s19
	s_mov_b64 s[2:3], 0
	s_cselect_b64 s[6:7], -1, 0
	s_cmp_ge_i32 s4, s19
	s_mov_b64 s[0:1], 0
	s_cbranch_scc1 .LBB13_15
; %bb.14:
	s_ashr_i32 s5, s4, 31
	s_lshl_b64 s[0:1], s[4:5], 3
	s_add_u32 s0, s8, s0
	s_addc_u32 s1, s9, s1
	s_load_dwordx2 s[0:1], s[0:1], 0x0
	s_waitcnt lgkmcnt(0)
	s_sub_u32 s0, s0, s18
	s_subb_u32 s1, s1, 0
.LBB13_15:
	s_andn2_b64 vcc, exec, s[6:7]
	s_cbranch_vccnz .LBB13_17
; %bb.16:
	s_ashr_i32 s5, s4, 31
	s_lshl_b64 s[2:3], s[4:5], 3
	s_add_u32 s2, s10, s2
	s_addc_u32 s3, s11, s3
	s_load_dwordx2 s[2:3], s[2:3], 0x0
	s_waitcnt lgkmcnt(0)
	s_sub_u32 s2, s2, s18
	s_subb_u32 s3, s3, 0
.LBB13_17:
	v_mov_b32_e32 v2, s1
	v_add_co_u32_e32 v1, vcc, s0, v0
	v_addc_co_u32_e32 v2, vcc, 0, v2, vcc
	v_cmp_gt_i64_e32 vcc, s[2:3], v[1:2]
	s_and_saveexec_b64 s[6:7], vcc
	s_cbranch_execz .LBB13_20
; %bb.18:
	v_lshlrev_b64 v[3:4], 2, v[1:2]
	s_add_i32 s0, s4, s18
	v_mov_b32_e32 v5, s13
	v_add_co_u32_e32 v3, vcc, s12, v3
	v_addc_co_u32_e32 v4, vcc, v5, v4, vcc
	s_mov_b64 s[14:15], 0
	v_mov_b32_e32 v5, s0
.LBB13_19:                              ; =>This Inner Loop Header: Depth=1
	v_add_co_u32_e32 v1, vcc, 0x100, v1
	v_addc_co_u32_e32 v2, vcc, 0, v2, vcc
	v_cmp_le_i64_e64 s[0:1], s[2:3], v[1:2]
	global_store_dword v[3:4], v5, off
	v_add_co_u32_e32 v3, vcc, 0x400, v3
	s_or_b64 s[14:15], s[0:1], s[14:15]
	v_addc_co_u32_e32 v4, vcc, 0, v4, vcc
	s_andn2_b64 exec, exec, s[14:15]
	s_cbranch_execnz .LBB13_19
.LBB13_20:
	s_or_b64 exec, exec, s[6:7]
.LBB13_21:
	v_mov_b32_e32 v5, 0
	ds_read_b32 v1, v5 offset:4
	s_waitcnt lgkmcnt(0)
	v_cmp_ne_u32_e32 vcc, 0, v1
	s_cbranch_vccz .LBB13_23
; %bb.22:
	ds_read_b32 v1, v5 offset:8
	s_waitcnt lgkmcnt(0)
	v_cmp_ne_u32_e32 vcc, 0, v1
	s_cbranch_vccnz .LBB13_39
	s_branch .LBB13_31
.LBB13_23:
	s_or_b32 s14, s4, 1
	s_cmp_lt_i32 s14, s19
	s_mov_b64 s[2:3], 0
	s_cselect_b64 s[6:7], -1, 0
	s_cmp_ge_i32 s14, s19
	s_mov_b64 s[0:1], 0
	s_cbranch_scc1 .LBB13_25
; %bb.24:
	s_ashr_i32 s5, s4, 31
	s_lshl_b64 s[0:1], s[4:5], 3
	s_add_u32 s0, s8, s0
	s_addc_u32 s1, s9, s1
	s_load_dwordx2 s[0:1], s[0:1], 0x8
	s_waitcnt lgkmcnt(0)
	s_sub_u32 s0, s0, s18
	s_subb_u32 s1, s1, 0
.LBB13_25:
	s_andn2_b64 vcc, exec, s[6:7]
	s_cbranch_vccnz .LBB13_27
; %bb.26:
	s_ashr_i32 s5, s4, 31
	s_lshl_b64 s[2:3], s[4:5], 3
	s_add_u32 s2, s10, s2
	s_addc_u32 s3, s11, s3
	s_load_dwordx2 s[2:3], s[2:3], 0x8
	s_waitcnt lgkmcnt(0)
	s_sub_u32 s2, s2, s18
	s_subb_u32 s3, s3, 0
.LBB13_27:
	v_mov_b32_e32 v2, s1
	v_add_co_u32_e32 v1, vcc, s0, v0
	v_addc_co_u32_e32 v2, vcc, 0, v2, vcc
	v_cmp_gt_i64_e32 vcc, s[2:3], v[1:2]
	s_and_saveexec_b64 s[6:7], vcc
	s_cbranch_execz .LBB13_30
; %bb.28:
	v_lshlrev_b64 v[3:4], 2, v[1:2]
	s_add_i32 s0, s14, s18
	v_mov_b32_e32 v6, s13
	v_add_co_u32_e32 v3, vcc, s12, v3
	v_addc_co_u32_e32 v4, vcc, v6, v4, vcc
	s_mov_b64 s[14:15], 0
	v_mov_b32_e32 v6, s0
.LBB13_29:                              ; =>This Inner Loop Header: Depth=1
	v_add_co_u32_e32 v1, vcc, 0x100, v1
	v_addc_co_u32_e32 v2, vcc, 0, v2, vcc
	v_cmp_le_i64_e64 s[0:1], s[2:3], v[1:2]
	global_store_dword v[3:4], v6, off
	v_add_co_u32_e32 v3, vcc, 0x400, v3
	s_or_b64 s[14:15], s[0:1], s[14:15]
	v_addc_co_u32_e32 v4, vcc, 0, v4, vcc
	s_andn2_b64 exec, exec, s[14:15]
	s_cbranch_execnz .LBB13_29
.LBB13_30:
	s_or_b64 exec, exec, s[6:7]
	ds_read_b32 v1, v5 offset:8
	s_waitcnt lgkmcnt(0)
	v_cmp_ne_u32_e32 vcc, 0, v1
	s_cbranch_vccnz .LBB13_39
.LBB13_31:
	s_or_b32 s14, s4, 2
	s_cmp_lt_i32 s14, s19
	s_mov_b64 s[2:3], 0
	s_cselect_b64 s[6:7], -1, 0
	s_cmp_ge_i32 s14, s19
	s_mov_b64 s[0:1], 0
	s_cbranch_scc1 .LBB13_33
; %bb.32:
	s_ashr_i32 s5, s4, 31
	s_lshl_b64 s[0:1], s[4:5], 3
	s_add_u32 s0, s8, s0
	s_addc_u32 s1, s9, s1
	s_load_dwordx2 s[0:1], s[0:1], 0x10
	s_waitcnt lgkmcnt(0)
	s_sub_u32 s0, s0, s18
	s_subb_u32 s1, s1, 0
.LBB13_33:
	s_andn2_b64 vcc, exec, s[6:7]
	s_cbranch_vccnz .LBB13_35
; %bb.34:
	s_ashr_i32 s5, s4, 31
	s_lshl_b64 s[2:3], s[4:5], 3
	s_add_u32 s2, s10, s2
	s_addc_u32 s3, s11, s3
	s_load_dwordx2 s[2:3], s[2:3], 0x10
	s_waitcnt lgkmcnt(0)
	s_sub_u32 s2, s2, s18
	s_subb_u32 s3, s3, 0
.LBB13_35:
	v_mov_b32_e32 v2, s1
	v_add_co_u32_e32 v1, vcc, s0, v0
	v_addc_co_u32_e32 v2, vcc, 0, v2, vcc
	v_cmp_gt_i64_e32 vcc, s[2:3], v[1:2]
	s_and_saveexec_b64 s[6:7], vcc
	s_cbranch_execz .LBB13_38
; %bb.36:
	v_lshlrev_b64 v[3:4], 2, v[1:2]
	s_add_i32 s0, s14, s18
	v_mov_b32_e32 v5, s13
	v_add_co_u32_e32 v3, vcc, s12, v3
	v_addc_co_u32_e32 v4, vcc, v5, v4, vcc
	s_mov_b64 s[14:15], 0
	v_mov_b32_e32 v5, s0
.LBB13_37:                              ; =>This Inner Loop Header: Depth=1
	v_add_co_u32_e32 v1, vcc, 0x100, v1
	v_addc_co_u32_e32 v2, vcc, 0, v2, vcc
	v_cmp_le_i64_e64 s[0:1], s[2:3], v[1:2]
	global_store_dword v[3:4], v5, off
	v_add_co_u32_e32 v3, vcc, 0x400, v3
	s_or_b64 s[14:15], s[0:1], s[14:15]
	v_addc_co_u32_e32 v4, vcc, 0, v4, vcc
	s_andn2_b64 exec, exec, s[14:15]
	s_cbranch_execnz .LBB13_37
.LBB13_38:
	s_or_b64 exec, exec, s[6:7]
.LBB13_39:
	v_mov_b32_e32 v1, 0
	ds_read_b32 v1, v1 offset:12
	s_waitcnt lgkmcnt(0)
	v_cmp_ne_u32_e32 vcc, 0, v1
	s_cbranch_vccnz .LBB13_47
; %bb.40:
	s_or_b32 s14, s4, 3
	s_cmp_lt_i32 s14, s19
	s_mov_b64 s[2:3], 0
	s_cselect_b64 s[6:7], -1, 0
	s_cmp_ge_i32 s14, s19
	s_mov_b64 s[0:1], 0
	s_cbranch_scc1 .LBB13_42
; %bb.41:
	s_ashr_i32 s5, s4, 31
	s_lshl_b64 s[0:1], s[4:5], 3
	s_add_u32 s0, s8, s0
	s_addc_u32 s1, s9, s1
	s_load_dwordx2 s[0:1], s[0:1], 0x18
	s_waitcnt lgkmcnt(0)
	s_sub_u32 s0, s0, s18
	s_subb_u32 s1, s1, 0
.LBB13_42:
	s_andn2_b64 vcc, exec, s[6:7]
	s_cbranch_vccnz .LBB13_44
; %bb.43:
	s_ashr_i32 s5, s4, 31
	s_lshl_b64 s[2:3], s[4:5], 3
	s_add_u32 s2, s10, s2
	s_addc_u32 s3, s11, s3
	s_load_dwordx2 s[2:3], s[2:3], 0x18
	s_waitcnt lgkmcnt(0)
	s_sub_u32 s2, s2, s18
	s_subb_u32 s3, s3, 0
.LBB13_44:
	v_mov_b32_e32 v1, s1
	v_add_co_u32_e32 v0, vcc, s0, v0
	v_addc_co_u32_e32 v1, vcc, 0, v1, vcc
	v_cmp_gt_i64_e32 vcc, s[2:3], v[0:1]
	s_and_saveexec_b64 s[0:1], vcc
	s_cbranch_execz .LBB13_47
; %bb.45:
	v_lshlrev_b64 v[2:3], 2, v[0:1]
	s_add_i32 s0, s14, s18
	v_mov_b32_e32 v4, s13
	v_add_co_u32_e32 v2, vcc, s12, v2
	v_addc_co_u32_e32 v3, vcc, v4, v3, vcc
	s_mov_b64 s[4:5], 0
	v_mov_b32_e32 v4, s0
.LBB13_46:                              ; =>This Inner Loop Header: Depth=1
	v_add_co_u32_e32 v0, vcc, 0x100, v0
	v_addc_co_u32_e32 v1, vcc, 0, v1, vcc
	v_cmp_le_i64_e64 s[0:1], s[2:3], v[0:1]
	global_store_dword v[2:3], v4, off
	v_add_co_u32_e32 v2, vcc, 0x400, v2
	s_or_b64 s[4:5], s[0:1], s[4:5]
	v_addc_co_u32_e32 v3, vcc, 0, v3, vcc
	s_andn2_b64 exec, exec, s[4:5]
	s_cbranch_execnz .LBB13_46
.LBB13_47:
	s_endpgm
	.section	.rodata,"a",@progbits
	.p2align	6, 0x0
	.amdhsa_kernel _ZN9rocsparseL14csr2coo_kernelILj256ELj64EliEEvT2_PKT1_S4_PS1_21rocsparse_index_base_
		.amdhsa_group_segment_fixed_size 20
		.amdhsa_private_segment_fixed_size 0
		.amdhsa_kernarg_size 36
		.amdhsa_user_sgpr_count 6
		.amdhsa_user_sgpr_private_segment_buffer 1
		.amdhsa_user_sgpr_dispatch_ptr 0
		.amdhsa_user_sgpr_queue_ptr 0
		.amdhsa_user_sgpr_kernarg_segment_ptr 1
		.amdhsa_user_sgpr_dispatch_id 0
		.amdhsa_user_sgpr_flat_scratch_init 0
		.amdhsa_user_sgpr_private_segment_size 0
		.amdhsa_uses_dynamic_stack 0
		.amdhsa_system_sgpr_private_segment_wavefront_offset 0
		.amdhsa_system_sgpr_workgroup_id_x 1
		.amdhsa_system_sgpr_workgroup_id_y 0
		.amdhsa_system_sgpr_workgroup_id_z 0
		.amdhsa_system_sgpr_workgroup_info 0
		.amdhsa_system_vgpr_workitem_id 0
		.amdhsa_next_free_vgpr 11
		.amdhsa_next_free_sgpr 20
		.amdhsa_reserve_vcc 1
		.amdhsa_reserve_flat_scratch 0
		.amdhsa_float_round_mode_32 0
		.amdhsa_float_round_mode_16_64 0
		.amdhsa_float_denorm_mode_32 3
		.amdhsa_float_denorm_mode_16_64 3
		.amdhsa_dx10_clamp 1
		.amdhsa_ieee_mode 1
		.amdhsa_fp16_overflow 0
		.amdhsa_exception_fp_ieee_invalid_op 0
		.amdhsa_exception_fp_denorm_src 0
		.amdhsa_exception_fp_ieee_div_zero 0
		.amdhsa_exception_fp_ieee_overflow 0
		.amdhsa_exception_fp_ieee_underflow 0
		.amdhsa_exception_fp_ieee_inexact 0
		.amdhsa_exception_int_div_zero 0
	.end_amdhsa_kernel
	.section	.text._ZN9rocsparseL14csr2coo_kernelILj256ELj64EliEEvT2_PKT1_S4_PS1_21rocsparse_index_base_,"axG",@progbits,_ZN9rocsparseL14csr2coo_kernelILj256ELj64EliEEvT2_PKT1_S4_PS1_21rocsparse_index_base_,comdat
.Lfunc_end13:
	.size	_ZN9rocsparseL14csr2coo_kernelILj256ELj64EliEEvT2_PKT1_S4_PS1_21rocsparse_index_base_, .Lfunc_end13-_ZN9rocsparseL14csr2coo_kernelILj256ELj64EliEEvT2_PKT1_S4_PS1_21rocsparse_index_base_
                                        ; -- End function
	.set _ZN9rocsparseL14csr2coo_kernelILj256ELj64EliEEvT2_PKT1_S4_PS1_21rocsparse_index_base_.num_vgpr, 11
	.set _ZN9rocsparseL14csr2coo_kernelILj256ELj64EliEEvT2_PKT1_S4_PS1_21rocsparse_index_base_.num_agpr, 0
	.set _ZN9rocsparseL14csr2coo_kernelILj256ELj64EliEEvT2_PKT1_S4_PS1_21rocsparse_index_base_.numbered_sgpr, 20
	.set _ZN9rocsparseL14csr2coo_kernelILj256ELj64EliEEvT2_PKT1_S4_PS1_21rocsparse_index_base_.num_named_barrier, 0
	.set _ZN9rocsparseL14csr2coo_kernelILj256ELj64EliEEvT2_PKT1_S4_PS1_21rocsparse_index_base_.private_seg_size, 0
	.set _ZN9rocsparseL14csr2coo_kernelILj256ELj64EliEEvT2_PKT1_S4_PS1_21rocsparse_index_base_.uses_vcc, 1
	.set _ZN9rocsparseL14csr2coo_kernelILj256ELj64EliEEvT2_PKT1_S4_PS1_21rocsparse_index_base_.uses_flat_scratch, 0
	.set _ZN9rocsparseL14csr2coo_kernelILj256ELj64EliEEvT2_PKT1_S4_PS1_21rocsparse_index_base_.has_dyn_sized_stack, 0
	.set _ZN9rocsparseL14csr2coo_kernelILj256ELj64EliEEvT2_PKT1_S4_PS1_21rocsparse_index_base_.has_recursion, 0
	.set _ZN9rocsparseL14csr2coo_kernelILj256ELj64EliEEvT2_PKT1_S4_PS1_21rocsparse_index_base_.has_indirect_call, 0
	.section	.AMDGPU.csdata,"",@progbits
; Kernel info:
; codeLenInByte = 1424
; TotalNumSgprs: 24
; NumVgprs: 11
; ScratchSize: 0
; MemoryBound: 0
; FloatMode: 240
; IeeeMode: 1
; LDSByteSize: 20 bytes/workgroup (compile time only)
; SGPRBlocks: 2
; VGPRBlocks: 2
; NumSGPRsForWavesPerEU: 24
; NumVGPRsForWavesPerEU: 11
; Occupancy: 10
; WaveLimiterHint : 0
; COMPUTE_PGM_RSRC2:SCRATCH_EN: 0
; COMPUTE_PGM_RSRC2:USER_SGPR: 6
; COMPUTE_PGM_RSRC2:TRAP_HANDLER: 0
; COMPUTE_PGM_RSRC2:TGID_X_EN: 1
; COMPUTE_PGM_RSRC2:TGID_Y_EN: 0
; COMPUTE_PGM_RSRC2:TGID_Z_EN: 0
; COMPUTE_PGM_RSRC2:TIDIG_COMP_CNT: 0
	.section	.text._ZN9rocsparseL14csr2coo_kernelILj256ELj128EliEEvT2_PKT1_S4_PS1_21rocsparse_index_base_,"axG",@progbits,_ZN9rocsparseL14csr2coo_kernelILj256ELj128EliEEvT2_PKT1_S4_PS1_21rocsparse_index_base_,comdat
	.globl	_ZN9rocsparseL14csr2coo_kernelILj256ELj128EliEEvT2_PKT1_S4_PS1_21rocsparse_index_base_ ; -- Begin function _ZN9rocsparseL14csr2coo_kernelILj256ELj128EliEEvT2_PKT1_S4_PS1_21rocsparse_index_base_
	.p2align	8
	.type	_ZN9rocsparseL14csr2coo_kernelILj256ELj128EliEEvT2_PKT1_S4_PS1_21rocsparse_index_base_,@function
_ZN9rocsparseL14csr2coo_kernelILj256ELj128EliEEvT2_PKT1_S4_PS1_21rocsparse_index_base_: ; @_ZN9rocsparseL14csr2coo_kernelILj256ELj128EliEEvT2_PKT1_S4_PS1_21rocsparse_index_base_
; %bb.0:
	s_load_dword s19, s[4:5], 0x0
	s_load_dwordx4 s[8:11], s[4:5], 0x8
	s_load_dwordx2 s[12:13], s[4:5], 0x18
	s_load_dword s18, s[4:5], 0x20
	v_lshrrev_b32_e32 v8, 7, v0
	v_mov_b32_e32 v1, 1
	v_mov_b32_e32 v2, 0
	s_lshl_b32 s4, s6, 1
	ds_write_b32 v2, v1 offset:8
	v_or_b32_e32 v3, s4, v8
	v_mov_b32_e32 v1, 0
	v_mov_b32_e32 v5, 0
	s_waitcnt lgkmcnt(0)
	v_cmp_gt_i32_e32 vcc, s19, v3
	v_mov_b32_e32 v2, 0
	v_mov_b32_e32 v6, 0
	v_ashrrev_i32_e32 v4, 31, v3
	s_barrier
	s_and_saveexec_b64 s[2:3], vcc
	s_cbranch_execz .LBB14_2
; %bb.1:
	v_lshlrev_b64 v[5:6], 3, v[3:4]
	v_mov_b32_e32 v7, s9
	v_add_co_u32_e64 v5, s[0:1], s8, v5
	v_addc_co_u32_e64 v6, s[0:1], v7, v6, s[0:1]
	global_load_dwordx2 v[5:6], v[5:6], off
	s_waitcnt vmcnt(0)
	v_subrev_co_u32_e64 v5, s[0:1], s18, v5
	v_subbrev_co_u32_e64 v6, s[0:1], 0, v6, s[0:1]
.LBB14_2:
	s_or_b64 exec, exec, s[2:3]
	s_and_saveexec_b64 s[0:1], vcc
	s_cbranch_execz .LBB14_4
; %bb.3:
	v_lshlrev_b64 v[1:2], 3, v[3:4]
	v_mov_b32_e32 v4, s11
	v_add_co_u32_e32 v1, vcc, s10, v1
	v_addc_co_u32_e32 v2, vcc, v4, v2, vcc
	global_load_dwordx2 v[1:2], v[1:2], off
	s_waitcnt vmcnt(0)
	v_subrev_co_u32_e32 v1, vcc, s18, v1
	v_subbrev_co_u32_e32 v2, vcc, 0, v2, vcc
.LBB14_4:
	s_or_b64 exec, exec, s[0:1]
	v_sub_co_u32_e32 v9, vcc, v1, v5
	v_subb_co_u32_e32 v10, vcc, v2, v6, vcc
	s_mov_b64 s[0:1], 0x401
	s_mov_b64 s[2:3], 0x400
	v_cmp_gt_i64_e64 s[0:1], s[0:1], v[9:10]
	v_cmp_lt_i64_e32 vcc, s[2:3], v[9:10]
	s_and_saveexec_b64 s[2:3], vcc
	s_xor_b64 s[2:3], exec, s[2:3]
; %bb.5:
	v_mov_b32_e32 v1, 0
	ds_write_b32 v1, v1 offset:8
                                        ; implicit-def: $vgpr5_vgpr6
                                        ; implicit-def: $vgpr1_vgpr2
                                        ; implicit-def: $vgpr3
; %bb.6:
	s_andn2_saveexec_b64 s[6:7], s[2:3]
	s_cbranch_execz .LBB14_11
; %bb.7:
	v_and_b32_e32 v4, 0x7f, v0
	v_add_co_u32_e32 v4, vcc, v5, v4
	v_addc_co_u32_e32 v5, vcc, 0, v6, vcc
	v_cmp_lt_i64_e32 vcc, v[4:5], v[1:2]
	s_and_saveexec_b64 s[14:15], vcc
	s_cbranch_execz .LBB14_10
; %bb.8:
	v_lshlrev_b64 v[6:7], 2, v[4:5]
	v_mov_b32_e32 v9, s13
	v_add_co_u32_e32 v6, vcc, s12, v6
	v_add_u32_e32 v3, s18, v3
	v_addc_co_u32_e32 v7, vcc, v9, v7, vcc
	s_mov_b64 s[16:17], 0
.LBB14_9:                               ; =>This Inner Loop Header: Depth=1
	v_add_co_u32_e32 v4, vcc, 0x80, v4
	v_addc_co_u32_e32 v5, vcc, 0, v5, vcc
	v_cmp_ge_i64_e64 s[2:3], v[4:5], v[1:2]
	global_store_dword v[6:7], v3, off
	v_add_co_u32_e32 v6, vcc, 0x200, v6
	s_or_b64 s[16:17], s[2:3], s[16:17]
	v_addc_co_u32_e32 v7, vcc, 0, v7, vcc
	s_andn2_b64 exec, exec, s[16:17]
	s_cbranch_execnz .LBB14_9
.LBB14_10:
	s_or_b64 exec, exec, s[14:15]
.LBB14_11:
	s_or_b64 exec, exec, s[6:7]
	v_cndmask_b32_e64 v1, 0, 1, s[0:1]
	v_lshlrev_b32_e32 v2, 2, v8
	ds_write_b32 v2, v1
	v_mov_b32_e32 v1, 0
	s_waitcnt vmcnt(0) lgkmcnt(0)
	s_barrier
	ds_read_b32 v2, v1 offset:8
	s_waitcnt lgkmcnt(0)
	v_cmp_ne_u32_e32 vcc, 0, v2
	s_cbranch_vccnz .LBB14_29
; %bb.12:
	ds_read_b32 v1, v1
	s_waitcnt lgkmcnt(0)
	v_cmp_ne_u32_e32 vcc, 0, v1
	s_cbranch_vccnz .LBB14_21
; %bb.13:
	s_cmp_lt_i32 s4, s19
	s_mov_b64 s[2:3], 0
	s_cselect_b64 s[6:7], -1, 0
	s_cmp_ge_i32 s4, s19
	s_mov_b64 s[0:1], 0
	s_cbranch_scc1 .LBB14_15
; %bb.14:
	s_ashr_i32 s5, s4, 31
	s_lshl_b64 s[0:1], s[4:5], 3
	s_add_u32 s0, s8, s0
	s_addc_u32 s1, s9, s1
	s_load_dwordx2 s[0:1], s[0:1], 0x0
	s_waitcnt lgkmcnt(0)
	s_sub_u32 s0, s0, s18
	s_subb_u32 s1, s1, 0
.LBB14_15:
	s_andn2_b64 vcc, exec, s[6:7]
	s_cbranch_vccnz .LBB14_17
; %bb.16:
	s_ashr_i32 s5, s4, 31
	s_lshl_b64 s[2:3], s[4:5], 3
	s_add_u32 s2, s10, s2
	s_addc_u32 s3, s11, s3
	s_load_dwordx2 s[2:3], s[2:3], 0x0
	s_waitcnt lgkmcnt(0)
	s_sub_u32 s2, s2, s18
	s_subb_u32 s3, s3, 0
.LBB14_17:
	v_mov_b32_e32 v2, s1
	v_add_co_u32_e32 v1, vcc, s0, v0
	v_addc_co_u32_e32 v2, vcc, 0, v2, vcc
	v_cmp_gt_i64_e32 vcc, s[2:3], v[1:2]
	s_and_saveexec_b64 s[6:7], vcc
	s_cbranch_execz .LBB14_20
; %bb.18:
	v_lshlrev_b64 v[3:4], 2, v[1:2]
	s_add_i32 s0, s4, s18
	v_mov_b32_e32 v5, s13
	v_add_co_u32_e32 v3, vcc, s12, v3
	v_addc_co_u32_e32 v4, vcc, v5, v4, vcc
	s_mov_b64 s[14:15], 0
	v_mov_b32_e32 v5, s0
.LBB14_19:                              ; =>This Inner Loop Header: Depth=1
	v_add_co_u32_e32 v1, vcc, 0x100, v1
	v_addc_co_u32_e32 v2, vcc, 0, v2, vcc
	v_cmp_le_i64_e64 s[0:1], s[2:3], v[1:2]
	global_store_dword v[3:4], v5, off
	v_add_co_u32_e32 v3, vcc, 0x400, v3
	s_or_b64 s[14:15], s[0:1], s[14:15]
	v_addc_co_u32_e32 v4, vcc, 0, v4, vcc
	s_andn2_b64 exec, exec, s[14:15]
	s_cbranch_execnz .LBB14_19
.LBB14_20:
	s_or_b64 exec, exec, s[6:7]
.LBB14_21:
	v_mov_b32_e32 v1, 0
	ds_read_b32 v1, v1 offset:4
	s_waitcnt lgkmcnt(0)
	v_cmp_ne_u32_e32 vcc, 0, v1
	s_cbranch_vccnz .LBB14_29
; %bb.22:
	s_or_b32 s14, s4, 1
	s_cmp_lt_i32 s14, s19
	s_mov_b64 s[2:3], 0
	s_cselect_b64 s[6:7], -1, 0
	s_cmp_ge_i32 s14, s19
	s_mov_b64 s[0:1], 0
	s_cbranch_scc1 .LBB14_24
; %bb.23:
	s_ashr_i32 s5, s4, 31
	s_lshl_b64 s[0:1], s[4:5], 3
	s_add_u32 s0, s8, s0
	s_addc_u32 s1, s9, s1
	s_load_dwordx2 s[0:1], s[0:1], 0x8
	s_waitcnt lgkmcnt(0)
	s_sub_u32 s0, s0, s18
	s_subb_u32 s1, s1, 0
.LBB14_24:
	s_andn2_b64 vcc, exec, s[6:7]
	s_cbranch_vccnz .LBB14_26
; %bb.25:
	s_ashr_i32 s5, s4, 31
	s_lshl_b64 s[2:3], s[4:5], 3
	s_add_u32 s2, s10, s2
	s_addc_u32 s3, s11, s3
	s_load_dwordx2 s[2:3], s[2:3], 0x8
	s_waitcnt lgkmcnt(0)
	s_sub_u32 s2, s2, s18
	s_subb_u32 s3, s3, 0
.LBB14_26:
	v_mov_b32_e32 v1, s1
	v_add_co_u32_e32 v0, vcc, s0, v0
	v_addc_co_u32_e32 v1, vcc, 0, v1, vcc
	v_cmp_gt_i64_e32 vcc, s[2:3], v[0:1]
	s_and_saveexec_b64 s[0:1], vcc
	s_cbranch_execz .LBB14_29
; %bb.27:
	v_lshlrev_b64 v[2:3], 2, v[0:1]
	s_add_i32 s0, s14, s18
	v_mov_b32_e32 v4, s13
	v_add_co_u32_e32 v2, vcc, s12, v2
	v_addc_co_u32_e32 v3, vcc, v4, v3, vcc
	s_mov_b64 s[4:5], 0
	v_mov_b32_e32 v4, s0
.LBB14_28:                              ; =>This Inner Loop Header: Depth=1
	v_add_co_u32_e32 v0, vcc, 0x100, v0
	v_addc_co_u32_e32 v1, vcc, 0, v1, vcc
	v_cmp_le_i64_e64 s[0:1], s[2:3], v[0:1]
	global_store_dword v[2:3], v4, off
	v_add_co_u32_e32 v2, vcc, 0x400, v2
	s_or_b64 s[4:5], s[0:1], s[4:5]
	v_addc_co_u32_e32 v3, vcc, 0, v3, vcc
	s_andn2_b64 exec, exec, s[4:5]
	s_cbranch_execnz .LBB14_28
.LBB14_29:
	s_endpgm
	.section	.rodata,"a",@progbits
	.p2align	6, 0x0
	.amdhsa_kernel _ZN9rocsparseL14csr2coo_kernelILj256ELj128EliEEvT2_PKT1_S4_PS1_21rocsparse_index_base_
		.amdhsa_group_segment_fixed_size 12
		.amdhsa_private_segment_fixed_size 0
		.amdhsa_kernarg_size 36
		.amdhsa_user_sgpr_count 6
		.amdhsa_user_sgpr_private_segment_buffer 1
		.amdhsa_user_sgpr_dispatch_ptr 0
		.amdhsa_user_sgpr_queue_ptr 0
		.amdhsa_user_sgpr_kernarg_segment_ptr 1
		.amdhsa_user_sgpr_dispatch_id 0
		.amdhsa_user_sgpr_flat_scratch_init 0
		.amdhsa_user_sgpr_private_segment_size 0
		.amdhsa_uses_dynamic_stack 0
		.amdhsa_system_sgpr_private_segment_wavefront_offset 0
		.amdhsa_system_sgpr_workgroup_id_x 1
		.amdhsa_system_sgpr_workgroup_id_y 0
		.amdhsa_system_sgpr_workgroup_id_z 0
		.amdhsa_system_sgpr_workgroup_info 0
		.amdhsa_system_vgpr_workitem_id 0
		.amdhsa_next_free_vgpr 11
		.amdhsa_next_free_sgpr 20
		.amdhsa_reserve_vcc 1
		.amdhsa_reserve_flat_scratch 0
		.amdhsa_float_round_mode_32 0
		.amdhsa_float_round_mode_16_64 0
		.amdhsa_float_denorm_mode_32 3
		.amdhsa_float_denorm_mode_16_64 3
		.amdhsa_dx10_clamp 1
		.amdhsa_ieee_mode 1
		.amdhsa_fp16_overflow 0
		.amdhsa_exception_fp_ieee_invalid_op 0
		.amdhsa_exception_fp_denorm_src 0
		.amdhsa_exception_fp_ieee_div_zero 0
		.amdhsa_exception_fp_ieee_overflow 0
		.amdhsa_exception_fp_ieee_underflow 0
		.amdhsa_exception_fp_ieee_inexact 0
		.amdhsa_exception_int_div_zero 0
	.end_amdhsa_kernel
	.section	.text._ZN9rocsparseL14csr2coo_kernelILj256ELj128EliEEvT2_PKT1_S4_PS1_21rocsparse_index_base_,"axG",@progbits,_ZN9rocsparseL14csr2coo_kernelILj256ELj128EliEEvT2_PKT1_S4_PS1_21rocsparse_index_base_,comdat
.Lfunc_end14:
	.size	_ZN9rocsparseL14csr2coo_kernelILj256ELj128EliEEvT2_PKT1_S4_PS1_21rocsparse_index_base_, .Lfunc_end14-_ZN9rocsparseL14csr2coo_kernelILj256ELj128EliEEvT2_PKT1_S4_PS1_21rocsparse_index_base_
                                        ; -- End function
	.set _ZN9rocsparseL14csr2coo_kernelILj256ELj128EliEEvT2_PKT1_S4_PS1_21rocsparse_index_base_.num_vgpr, 11
	.set _ZN9rocsparseL14csr2coo_kernelILj256ELj128EliEEvT2_PKT1_S4_PS1_21rocsparse_index_base_.num_agpr, 0
	.set _ZN9rocsparseL14csr2coo_kernelILj256ELj128EliEEvT2_PKT1_S4_PS1_21rocsparse_index_base_.numbered_sgpr, 20
	.set _ZN9rocsparseL14csr2coo_kernelILj256ELj128EliEEvT2_PKT1_S4_PS1_21rocsparse_index_base_.num_named_barrier, 0
	.set _ZN9rocsparseL14csr2coo_kernelILj256ELj128EliEEvT2_PKT1_S4_PS1_21rocsparse_index_base_.private_seg_size, 0
	.set _ZN9rocsparseL14csr2coo_kernelILj256ELj128EliEEvT2_PKT1_S4_PS1_21rocsparse_index_base_.uses_vcc, 1
	.set _ZN9rocsparseL14csr2coo_kernelILj256ELj128EliEEvT2_PKT1_S4_PS1_21rocsparse_index_base_.uses_flat_scratch, 0
	.set _ZN9rocsparseL14csr2coo_kernelILj256ELj128EliEEvT2_PKT1_S4_PS1_21rocsparse_index_base_.has_dyn_sized_stack, 0
	.set _ZN9rocsparseL14csr2coo_kernelILj256ELj128EliEEvT2_PKT1_S4_PS1_21rocsparse_index_base_.has_recursion, 0
	.set _ZN9rocsparseL14csr2coo_kernelILj256ELj128EliEEvT2_PKT1_S4_PS1_21rocsparse_index_base_.has_indirect_call, 0
	.section	.AMDGPU.csdata,"",@progbits
; Kernel info:
; codeLenInByte = 924
; TotalNumSgprs: 24
; NumVgprs: 11
; ScratchSize: 0
; MemoryBound: 0
; FloatMode: 240
; IeeeMode: 1
; LDSByteSize: 12 bytes/workgroup (compile time only)
; SGPRBlocks: 2
; VGPRBlocks: 2
; NumSGPRsForWavesPerEU: 24
; NumVGPRsForWavesPerEU: 11
; Occupancy: 10
; WaveLimiterHint : 0
; COMPUTE_PGM_RSRC2:SCRATCH_EN: 0
; COMPUTE_PGM_RSRC2:USER_SGPR: 6
; COMPUTE_PGM_RSRC2:TRAP_HANDLER: 0
; COMPUTE_PGM_RSRC2:TGID_X_EN: 1
; COMPUTE_PGM_RSRC2:TGID_Y_EN: 0
; COMPUTE_PGM_RSRC2:TGID_Z_EN: 0
; COMPUTE_PGM_RSRC2:TIDIG_COMP_CNT: 0
	.section	.text._ZN9rocsparseL14csr2coo_kernelILj256ELj256EliEEvT2_PKT1_S4_PS1_21rocsparse_index_base_,"axG",@progbits,_ZN9rocsparseL14csr2coo_kernelILj256ELj256EliEEvT2_PKT1_S4_PS1_21rocsparse_index_base_,comdat
	.globl	_ZN9rocsparseL14csr2coo_kernelILj256ELj256EliEEvT2_PKT1_S4_PS1_21rocsparse_index_base_ ; -- Begin function _ZN9rocsparseL14csr2coo_kernelILj256ELj256EliEEvT2_PKT1_S4_PS1_21rocsparse_index_base_
	.p2align	8
	.type	_ZN9rocsparseL14csr2coo_kernelILj256ELj256EliEEvT2_PKT1_S4_PS1_21rocsparse_index_base_,@function
_ZN9rocsparseL14csr2coo_kernelILj256ELj256EliEEvT2_PKT1_S4_PS1_21rocsparse_index_base_: ; @_ZN9rocsparseL14csr2coo_kernelILj256ELj256EliEEvT2_PKT1_S4_PS1_21rocsparse_index_base_
; %bb.0:
	s_load_dword s19, s[4:5], 0x0
	s_load_dwordx4 s[8:11], s[4:5], 0x8
	s_load_dwordx2 s[12:13], s[4:5], 0x18
	s_load_dword s18, s[4:5], 0x20
	v_mov_b32_e32 v1, 0
	v_mov_b32_e32 v2, 1
	ds_write_b32 v1, v2 offset:4
	s_waitcnt lgkmcnt(0)
	s_cmp_lt_i32 s6, s19
	v_mov_b32_e32 v1, 0
	v_mov_b32_e32 v5, 0
	v_mov_b32_e32 v3, s6
	s_cselect_b64 s[0:1], -1, 0
	v_mov_b32_e32 v2, 0
	v_mov_b32_e32 v6, 0
	v_ashrrev_i32_e64 v4, 31, s6
	s_barrier
	s_and_saveexec_b64 s[2:3], s[0:1]
	s_cbranch_execz .LBB15_2
; %bb.1:
	v_lshlrev_b64 v[5:6], 3, v[3:4]
	v_mov_b32_e32 v7, s9
	v_add_co_u32_e32 v5, vcc, s8, v5
	v_addc_co_u32_e32 v6, vcc, v7, v6, vcc
	global_load_dwordx2 v[5:6], v[5:6], off
	s_waitcnt vmcnt(0)
	v_subrev_co_u32_e32 v5, vcc, s18, v5
	v_subbrev_co_u32_e32 v6, vcc, 0, v6, vcc
.LBB15_2:
	s_or_b64 exec, exec, s[2:3]
	s_and_saveexec_b64 s[2:3], s[0:1]
	s_cbranch_execz .LBB15_4
; %bb.3:
	v_lshlrev_b64 v[1:2], 3, v[3:4]
	v_mov_b32_e32 v4, s11
	v_add_co_u32_e32 v1, vcc, s10, v1
	v_addc_co_u32_e32 v2, vcc, v4, v2, vcc
	global_load_dwordx2 v[1:2], v[1:2], off
	s_waitcnt vmcnt(0)
	v_subrev_co_u32_e32 v1, vcc, s18, v1
	v_subbrev_co_u32_e32 v2, vcc, 0, v2, vcc
.LBB15_4:
	s_or_b64 exec, exec, s[2:3]
	v_sub_co_u32_e32 v7, vcc, v1, v5
	v_subb_co_u32_e32 v8, vcc, v2, v6, vcc
	s_mov_b64 s[0:1], 0x801
	s_mov_b64 s[2:3], 0x800
	v_cmp_gt_i64_e64 s[0:1], s[0:1], v[7:8]
	v_cmp_lt_i64_e32 vcc, s[2:3], v[7:8]
	s_and_saveexec_b64 s[2:3], vcc
	s_xor_b64 s[2:3], exec, s[2:3]
; %bb.5:
	v_mov_b32_e32 v1, 0
	ds_write_b32 v1, v1 offset:4
                                        ; implicit-def: $vgpr5_vgpr6
                                        ; implicit-def: $vgpr1_vgpr2
                                        ; implicit-def: $vgpr3
; %bb.6:
	s_andn2_saveexec_b64 s[4:5], s[2:3]
	s_cbranch_execz .LBB15_11
; %bb.7:
	v_add_co_u32_e32 v4, vcc, v5, v0
	v_addc_co_u32_e32 v5, vcc, 0, v6, vcc
	v_cmp_lt_i64_e32 vcc, v[4:5], v[1:2]
	s_and_saveexec_b64 s[14:15], vcc
	s_cbranch_execz .LBB15_10
; %bb.8:
	v_lshlrev_b64 v[6:7], 2, v[4:5]
	v_mov_b32_e32 v8, s13
	v_add_co_u32_e32 v6, vcc, s12, v6
	v_add_u32_e32 v3, s18, v3
	v_addc_co_u32_e32 v7, vcc, v8, v7, vcc
	s_mov_b64 s[16:17], 0
.LBB15_9:                               ; =>This Inner Loop Header: Depth=1
	v_add_co_u32_e32 v4, vcc, 0x100, v4
	v_addc_co_u32_e32 v5, vcc, 0, v5, vcc
	v_cmp_ge_i64_e64 s[2:3], v[4:5], v[1:2]
	global_store_dword v[6:7], v3, off
	v_add_co_u32_e32 v6, vcc, 0x400, v6
	s_or_b64 s[16:17], s[2:3], s[16:17]
	v_addc_co_u32_e32 v7, vcc, 0, v7, vcc
	s_andn2_b64 exec, exec, s[16:17]
	s_cbranch_execnz .LBB15_9
.LBB15_10:
	s_or_b64 exec, exec, s[14:15]
.LBB15_11:
	s_or_b64 exec, exec, s[4:5]
	v_cndmask_b32_e64 v2, 0, 1, s[0:1]
	v_mov_b32_e32 v1, 0
	ds_write_b32 v1, v2
	s_waitcnt vmcnt(0) lgkmcnt(0)
	s_barrier
	ds_read_b32 v2, v1 offset:4
	s_waitcnt lgkmcnt(0)
	v_cmp_ne_u32_e32 vcc, 0, v2
	s_cbranch_vccnz .LBB15_20
; %bb.12:
	ds_read_b32 v1, v1
	s_waitcnt lgkmcnt(0)
	v_cmp_ne_u32_e32 vcc, 0, v1
	s_cbranch_vccnz .LBB15_20
; %bb.13:
	s_cmp_lt_i32 s6, s19
	s_cselect_b64 s[4:5], -1, 0
	s_ashr_i32 s7, s6, 31
	s_cmp_ge_i32 s6, s19
	s_mov_b64 s[2:3], 0
	s_mov_b64 s[0:1], 0
	s_cbranch_scc1 .LBB15_15
; %bb.14:
	s_lshl_b64 s[0:1], s[6:7], 3
	s_add_u32 s0, s8, s0
	s_addc_u32 s1, s9, s1
	s_load_dwordx2 s[0:1], s[0:1], 0x0
	s_waitcnt lgkmcnt(0)
	s_sub_u32 s0, s0, s18
	s_subb_u32 s1, s1, 0
.LBB15_15:
	s_andn2_b64 vcc, exec, s[4:5]
	s_cbranch_vccnz .LBB15_17
; %bb.16:
	s_lshl_b64 s[2:3], s[6:7], 3
	s_add_u32 s2, s10, s2
	s_addc_u32 s3, s11, s3
	s_load_dwordx2 s[2:3], s[2:3], 0x0
	s_waitcnt lgkmcnt(0)
	s_sub_u32 s2, s2, s18
	s_subb_u32 s3, s3, 0
.LBB15_17:
	v_mov_b32_e32 v1, s1
	v_add_co_u32_e32 v0, vcc, s0, v0
	v_addc_co_u32_e32 v1, vcc, 0, v1, vcc
	v_cmp_gt_i64_e32 vcc, s[2:3], v[0:1]
	s_and_saveexec_b64 s[0:1], vcc
	s_cbranch_execz .LBB15_20
; %bb.18:
	v_lshlrev_b64 v[2:3], 2, v[0:1]
	s_add_i32 s0, s18, s6
	v_mov_b32_e32 v4, s13
	v_add_co_u32_e32 v2, vcc, s12, v2
	v_addc_co_u32_e32 v3, vcc, v4, v3, vcc
	s_mov_b64 s[4:5], 0
	v_mov_b32_e32 v4, s0
.LBB15_19:                              ; =>This Inner Loop Header: Depth=1
	v_add_co_u32_e32 v0, vcc, 0x100, v0
	v_addc_co_u32_e32 v1, vcc, 0, v1, vcc
	v_cmp_le_i64_e64 s[0:1], s[2:3], v[0:1]
	global_store_dword v[2:3], v4, off
	v_add_co_u32_e32 v2, vcc, 0x400, v2
	s_or_b64 s[4:5], s[0:1], s[4:5]
	v_addc_co_u32_e32 v3, vcc, 0, v3, vcc
	s_andn2_b64 exec, exec, s[4:5]
	s_cbranch_execnz .LBB15_19
.LBB15_20:
	s_endpgm
	.section	.rodata,"a",@progbits
	.p2align	6, 0x0
	.amdhsa_kernel _ZN9rocsparseL14csr2coo_kernelILj256ELj256EliEEvT2_PKT1_S4_PS1_21rocsparse_index_base_
		.amdhsa_group_segment_fixed_size 8
		.amdhsa_private_segment_fixed_size 0
		.amdhsa_kernarg_size 36
		.amdhsa_user_sgpr_count 6
		.amdhsa_user_sgpr_private_segment_buffer 1
		.amdhsa_user_sgpr_dispatch_ptr 0
		.amdhsa_user_sgpr_queue_ptr 0
		.amdhsa_user_sgpr_kernarg_segment_ptr 1
		.amdhsa_user_sgpr_dispatch_id 0
		.amdhsa_user_sgpr_flat_scratch_init 0
		.amdhsa_user_sgpr_private_segment_size 0
		.amdhsa_uses_dynamic_stack 0
		.amdhsa_system_sgpr_private_segment_wavefront_offset 0
		.amdhsa_system_sgpr_workgroup_id_x 1
		.amdhsa_system_sgpr_workgroup_id_y 0
		.amdhsa_system_sgpr_workgroup_id_z 0
		.amdhsa_system_sgpr_workgroup_info 0
		.amdhsa_system_vgpr_workitem_id 0
		.amdhsa_next_free_vgpr 9
		.amdhsa_next_free_sgpr 20
		.amdhsa_reserve_vcc 1
		.amdhsa_reserve_flat_scratch 0
		.amdhsa_float_round_mode_32 0
		.amdhsa_float_round_mode_16_64 0
		.amdhsa_float_denorm_mode_32 3
		.amdhsa_float_denorm_mode_16_64 3
		.amdhsa_dx10_clamp 1
		.amdhsa_ieee_mode 1
		.amdhsa_fp16_overflow 0
		.amdhsa_exception_fp_ieee_invalid_op 0
		.amdhsa_exception_fp_denorm_src 0
		.amdhsa_exception_fp_ieee_div_zero 0
		.amdhsa_exception_fp_ieee_overflow 0
		.amdhsa_exception_fp_ieee_underflow 0
		.amdhsa_exception_fp_ieee_inexact 0
		.amdhsa_exception_int_div_zero 0
	.end_amdhsa_kernel
	.section	.text._ZN9rocsparseL14csr2coo_kernelILj256ELj256EliEEvT2_PKT1_S4_PS1_21rocsparse_index_base_,"axG",@progbits,_ZN9rocsparseL14csr2coo_kernelILj256ELj256EliEEvT2_PKT1_S4_PS1_21rocsparse_index_base_,comdat
.Lfunc_end15:
	.size	_ZN9rocsparseL14csr2coo_kernelILj256ELj256EliEEvT2_PKT1_S4_PS1_21rocsparse_index_base_, .Lfunc_end15-_ZN9rocsparseL14csr2coo_kernelILj256ELj256EliEEvT2_PKT1_S4_PS1_21rocsparse_index_base_
                                        ; -- End function
	.set _ZN9rocsparseL14csr2coo_kernelILj256ELj256EliEEvT2_PKT1_S4_PS1_21rocsparse_index_base_.num_vgpr, 9
	.set _ZN9rocsparseL14csr2coo_kernelILj256ELj256EliEEvT2_PKT1_S4_PS1_21rocsparse_index_base_.num_agpr, 0
	.set _ZN9rocsparseL14csr2coo_kernelILj256ELj256EliEEvT2_PKT1_S4_PS1_21rocsparse_index_base_.numbered_sgpr, 20
	.set _ZN9rocsparseL14csr2coo_kernelILj256ELj256EliEEvT2_PKT1_S4_PS1_21rocsparse_index_base_.num_named_barrier, 0
	.set _ZN9rocsparseL14csr2coo_kernelILj256ELj256EliEEvT2_PKT1_S4_PS1_21rocsparse_index_base_.private_seg_size, 0
	.set _ZN9rocsparseL14csr2coo_kernelILj256ELj256EliEEvT2_PKT1_S4_PS1_21rocsparse_index_base_.uses_vcc, 1
	.set _ZN9rocsparseL14csr2coo_kernelILj256ELj256EliEEvT2_PKT1_S4_PS1_21rocsparse_index_base_.uses_flat_scratch, 0
	.set _ZN9rocsparseL14csr2coo_kernelILj256ELj256EliEEvT2_PKT1_S4_PS1_21rocsparse_index_base_.has_dyn_sized_stack, 0
	.set _ZN9rocsparseL14csr2coo_kernelILj256ELj256EliEEvT2_PKT1_S4_PS1_21rocsparse_index_base_.has_recursion, 0
	.set _ZN9rocsparseL14csr2coo_kernelILj256ELj256EliEEvT2_PKT1_S4_PS1_21rocsparse_index_base_.has_indirect_call, 0
	.section	.AMDGPU.csdata,"",@progbits
; Kernel info:
; codeLenInByte = 648
; TotalNumSgprs: 24
; NumVgprs: 9
; ScratchSize: 0
; MemoryBound: 0
; FloatMode: 240
; IeeeMode: 1
; LDSByteSize: 8 bytes/workgroup (compile time only)
; SGPRBlocks: 2
; VGPRBlocks: 2
; NumSGPRsForWavesPerEU: 24
; NumVGPRsForWavesPerEU: 9
; Occupancy: 10
; WaveLimiterHint : 0
; COMPUTE_PGM_RSRC2:SCRATCH_EN: 0
; COMPUTE_PGM_RSRC2:USER_SGPR: 6
; COMPUTE_PGM_RSRC2:TRAP_HANDLER: 0
; COMPUTE_PGM_RSRC2:TGID_X_EN: 1
; COMPUTE_PGM_RSRC2:TGID_Y_EN: 0
; COMPUTE_PGM_RSRC2:TGID_Z_EN: 0
; COMPUTE_PGM_RSRC2:TIDIG_COMP_CNT: 0
	.section	.text._ZN9rocsparseL14csr2coo_kernelILj256ELj2EilEEvT2_PKT1_S4_PS1_21rocsparse_index_base_,"axG",@progbits,_ZN9rocsparseL14csr2coo_kernelILj256ELj2EilEEvT2_PKT1_S4_PS1_21rocsparse_index_base_,comdat
	.globl	_ZN9rocsparseL14csr2coo_kernelILj256ELj2EilEEvT2_PKT1_S4_PS1_21rocsparse_index_base_ ; -- Begin function _ZN9rocsparseL14csr2coo_kernelILj256ELj2EilEEvT2_PKT1_S4_PS1_21rocsparse_index_base_
	.p2align	8
	.type	_ZN9rocsparseL14csr2coo_kernelILj256ELj2EilEEvT2_PKT1_S4_PS1_21rocsparse_index_base_,@function
_ZN9rocsparseL14csr2coo_kernelILj256ELj2EilEEvT2_PKT1_S4_PS1_21rocsparse_index_base_: ; @_ZN9rocsparseL14csr2coo_kernelILj256ELj2EilEEvT2_PKT1_S4_PS1_21rocsparse_index_base_
; %bb.0:
	s_load_dwordx8 s[8:15], s[4:5], 0x0
	s_load_dword s16, s[4:5], 0x20
	v_mov_b32_e32 v1, 1
	v_lshrrev_b32_e32 v7, 1, v0
	v_mov_b32_e32 v2, 0
	s_lshl_b32 s17, s6, 7
	ds_write_b32 v2, v1 offset:512
	v_or_b32_e32 v1, s17, v7
	s_waitcnt lgkmcnt(0)
	v_cmp_gt_i64_e32 vcc, s[8:9], v[1:2]
	v_lshlrev_b64 v[3:4], 2, v[1:2]
	v_mov_b32_e32 v5, v2
	s_barrier
	s_and_saveexec_b64 s[2:3], vcc
	s_cbranch_execz .LBB16_2
; %bb.1:
	v_mov_b32_e32 v6, s11
	v_add_co_u32_e64 v5, s[0:1], s10, v3
	v_addc_co_u32_e64 v6, s[0:1], v6, v4, s[0:1]
	global_load_dword v5, v[5:6], off
	s_waitcnt vmcnt(0)
	v_subrev_u32_e32 v5, s16, v5
.LBB16_2:
	s_or_b64 exec, exec, s[2:3]
	s_and_saveexec_b64 s[0:1], vcc
	s_cbranch_execz .LBB16_4
; %bb.3:
	v_mov_b32_e32 v6, s13
	v_add_co_u32_e32 v2, vcc, s12, v3
	v_addc_co_u32_e32 v3, vcc, v6, v4, vcc
	global_load_dword v2, v[2:3], off
	s_waitcnt vmcnt(0)
	v_subrev_u32_e32 v2, s16, v2
.LBB16_4:
	s_or_b64 exec, exec, s[0:1]
	v_sub_u32_e32 v3, v2, v5
	v_cmp_gt_u32_e32 vcc, 17, v3
	v_cmp_lt_u32_e64 s[0:1], 16, v3
	s_and_saveexec_b64 s[2:3], s[0:1]
	s_xor_b64 s[0:1], exec, s[2:3]
; %bb.5:
	v_mov_b32_e32 v1, 0
	ds_write_b32 v1, v1 offset:512
                                        ; implicit-def: $vgpr5
                                        ; implicit-def: $vgpr2
; %bb.6:
	s_andn2_saveexec_b64 s[2:3], s[0:1]
	s_cbranch_execz .LBB16_11
; %bb.7:
	v_and_b32_e32 v3, 1, v0
	v_add_u32_e32 v3, v5, v3
	v_cmp_lt_i32_e64 s[0:1], v3, v2
	s_and_saveexec_b64 s[4:5], s[0:1]
	s_cbranch_execz .LBB16_10
; %bb.8:
	v_add_co_u32_e64 v5, s[0:1], s16, v1
	v_addc_co_u32_e64 v6, s[0:1], 0, 0, s[0:1]
	s_mov_b64 s[6:7], 0
	v_mov_b32_e32 v1, s15
.LBB16_9:                               ; =>This Inner Loop Header: Depth=1
	v_ashrrev_i32_e32 v4, 31, v3
	v_lshlrev_b64 v[8:9], 3, v[3:4]
	v_add_u32_e32 v3, 2, v3
	v_add_co_u32_e64 v8, s[0:1], s14, v8
	v_addc_co_u32_e64 v9, s[0:1], v1, v9, s[0:1]
	v_cmp_ge_i32_e64 s[0:1], v3, v2
	s_or_b64 s[6:7], s[0:1], s[6:7]
	global_store_dwordx2 v[8:9], v[5:6], off
	s_andn2_b64 exec, exec, s[6:7]
	s_cbranch_execnz .LBB16_9
.LBB16_10:
	s_or_b64 exec, exec, s[4:5]
.LBB16_11:
	s_or_b64 exec, exec, s[2:3]
	v_cndmask_b32_e64 v1, 0, 1, vcc
	v_lshlrev_b32_e32 v2, 2, v7
	ds_write_b32 v2, v1
	v_mov_b32_e32 v1, 0
	s_waitcnt vmcnt(0) lgkmcnt(0)
	s_barrier
	ds_read_b32 v1, v1 offset:512
	s_mov_b32 s3, 0
	s_waitcnt lgkmcnt(0)
	v_cmp_ne_u32_e32 vcc, 0, v1
	s_cbranch_vccz .LBB16_13
.LBB16_12:
	s_endpgm
.LBB16_13:
	s_or_b32 s18, s17, 1
	s_mov_b32 s19, 0
	s_branch .LBB16_16
.LBB16_14:                              ;   in Loop: Header=BB16_16 Depth=1
	s_or_b64 exec, exec, s[0:1]
.LBB16_15:                              ;   in Loop: Header=BB16_16 Depth=1
	s_add_i32 s19, s19, 2
	s_cmpk_lg_i32 s19, 0x80
	s_cbranch_scc0 .LBB16_12
.LBB16_16:                              ; =>This Loop Header: Depth=1
                                        ;     Child Loop BB16_23 Depth 2
                                        ;     Child Loop BB16_32 Depth 2
	s_lshl_b32 s20, s19, 2
	v_mov_b32_e32 v1, s20
	ds_read_b32 v1, v1
	s_waitcnt lgkmcnt(0)
	v_cmp_ne_u32_e32 vcc, 0, v1
	s_cbranch_vccnz .LBB16_25
; %bb.17:                               ;   in Loop: Header=BB16_16 Depth=1
	s_or_b32 s2, s19, s17
	v_mov_b32_e32 v1, s2
	v_mov_b32_e32 v2, s3
	v_cmp_le_i64_e32 vcc, s[8:9], v[1:2]
	v_cmp_gt_i64_e64 s[0:1], s[8:9], v[1:2]
	s_mov_b32 s21, 0
	s_mov_b32 s4, 0
	s_cbranch_vccz .LBB16_20
; %bb.18:                               ;   in Loop: Header=BB16_16 Depth=1
	s_andn2_b64 vcc, exec, s[0:1]
	s_cbranch_vccz .LBB16_21
.LBB16_19:                              ;   in Loop: Header=BB16_16 Depth=1
	v_add_u32_e32 v1, s4, v0
	v_cmp_gt_i32_e32 vcc, s21, v1
	s_and_saveexec_b64 s[0:1], vcc
	s_cbranch_execnz .LBB16_22
	s_branch .LBB16_24
.LBB16_20:                              ;   in Loop: Header=BB16_16 Depth=1
	s_lshl_b64 s[4:5], s[2:3], 2
	s_add_u32 s4, s10, s4
	s_addc_u32 s5, s11, s5
	s_load_dword s4, s[4:5], 0x0
	s_waitcnt lgkmcnt(0)
	s_sub_i32 s4, s4, s16
	s_andn2_b64 vcc, exec, s[0:1]
	s_cbranch_vccnz .LBB16_19
.LBB16_21:                              ;   in Loop: Header=BB16_16 Depth=1
	s_lshl_b64 s[0:1], s[2:3], 2
	s_add_u32 s0, s12, s0
	s_addc_u32 s1, s13, s1
	s_load_dword s0, s[0:1], 0x0
	s_waitcnt lgkmcnt(0)
	s_sub_i32 s21, s0, s16
	v_add_u32_e32 v1, s4, v0
	v_cmp_gt_i32_e32 vcc, s21, v1
	s_and_saveexec_b64 s[0:1], vcc
	s_cbranch_execz .LBB16_24
.LBB16_22:                              ;   in Loop: Header=BB16_16 Depth=1
	s_add_u32 s4, s2, s16
	s_addc_u32 s5, 0, 0
	s_mov_b64 s[6:7], 0
.LBB16_23:                              ;   Parent Loop BB16_16 Depth=1
                                        ; =>  This Inner Loop Header: Depth=2
	v_ashrrev_i32_e32 v2, 31, v1
	v_lshlrev_b64 v[2:3], 3, v[1:2]
	v_mov_b32_e32 v4, s15
	v_add_co_u32_e32 v2, vcc, s14, v2
	v_addc_co_u32_e32 v3, vcc, v4, v3, vcc
	v_add_u32_e32 v1, 0x100, v1
	v_mov_b32_e32 v4, s4
	v_cmp_le_i32_e32 vcc, s21, v1
	v_mov_b32_e32 v5, s5
	s_or_b64 s[6:7], vcc, s[6:7]
	global_store_dwordx2 v[2:3], v[4:5], off
	s_andn2_b64 exec, exec, s[6:7]
	s_cbranch_execnz .LBB16_23
.LBB16_24:                              ;   in Loop: Header=BB16_16 Depth=1
	s_or_b64 exec, exec, s[0:1]
.LBB16_25:                              ;   in Loop: Header=BB16_16 Depth=1
	v_mov_b32_e32 v1, s20
	ds_read_b32 v1, v1 offset:4
	s_waitcnt lgkmcnt(0)
	v_cmp_ne_u32_e32 vcc, 0, v1
	s_cbranch_vccnz .LBB16_15
; %bb.26:                               ;   in Loop: Header=BB16_16 Depth=1
	s_or_b32 s2, s19, s18
	v_mov_b32_e32 v1, s2
	v_mov_b32_e32 v2, s3
	v_cmp_le_i64_e32 vcc, s[8:9], v[1:2]
	v_cmp_gt_i64_e64 s[0:1], s[8:9], v[1:2]
	s_mov_b32 s20, 0
	s_mov_b32 s4, 0
	s_cbranch_vccz .LBB16_29
; %bb.27:                               ;   in Loop: Header=BB16_16 Depth=1
	s_andn2_b64 vcc, exec, s[0:1]
	s_cbranch_vccz .LBB16_30
.LBB16_28:                              ;   in Loop: Header=BB16_16 Depth=1
	v_add_u32_e32 v1, s4, v0
	v_cmp_gt_i32_e32 vcc, s20, v1
	s_and_saveexec_b64 s[0:1], vcc
	s_cbranch_execz .LBB16_14
	s_branch .LBB16_31
.LBB16_29:                              ;   in Loop: Header=BB16_16 Depth=1
	s_add_u32 s4, s19, s17
	s_addc_u32 s5, 0, 0
	s_lshl_b64 s[4:5], s[4:5], 2
	s_add_u32 s4, s10, s4
	s_addc_u32 s5, s11, s5
	s_load_dword s4, s[4:5], 0x4
	s_waitcnt lgkmcnt(0)
	s_sub_i32 s4, s4, s16
	s_andn2_b64 vcc, exec, s[0:1]
	s_cbranch_vccnz .LBB16_28
.LBB16_30:                              ;   in Loop: Header=BB16_16 Depth=1
	s_add_u32 s0, s19, s17
	s_addc_u32 s1, 0, 0
	s_lshl_b64 s[0:1], s[0:1], 2
	s_add_u32 s0, s12, s0
	s_addc_u32 s1, s13, s1
	s_load_dword s0, s[0:1], 0x4
	s_waitcnt lgkmcnt(0)
	s_sub_i32 s20, s0, s16
	v_add_u32_e32 v1, s4, v0
	v_cmp_gt_i32_e32 vcc, s20, v1
	s_and_saveexec_b64 s[0:1], vcc
	s_cbranch_execz .LBB16_14
.LBB16_31:                              ;   in Loop: Header=BB16_16 Depth=1
	s_add_u32 s4, s2, s16
	s_addc_u32 s5, 0, 0
	s_mov_b64 s[6:7], 0
.LBB16_32:                              ;   Parent Loop BB16_16 Depth=1
                                        ; =>  This Inner Loop Header: Depth=2
	v_ashrrev_i32_e32 v2, 31, v1
	v_lshlrev_b64 v[2:3], 3, v[1:2]
	v_mov_b32_e32 v4, s15
	v_add_co_u32_e32 v2, vcc, s14, v2
	v_addc_co_u32_e32 v3, vcc, v4, v3, vcc
	v_add_u32_e32 v1, 0x100, v1
	v_mov_b32_e32 v4, s4
	v_cmp_le_i32_e32 vcc, s20, v1
	v_mov_b32_e32 v5, s5
	s_or_b64 s[6:7], vcc, s[6:7]
	global_store_dwordx2 v[2:3], v[4:5], off
	s_andn2_b64 exec, exec, s[6:7]
	s_cbranch_execnz .LBB16_32
	s_branch .LBB16_14
	.section	.rodata,"a",@progbits
	.p2align	6, 0x0
	.amdhsa_kernel _ZN9rocsparseL14csr2coo_kernelILj256ELj2EilEEvT2_PKT1_S4_PS1_21rocsparse_index_base_
		.amdhsa_group_segment_fixed_size 516
		.amdhsa_private_segment_fixed_size 0
		.amdhsa_kernarg_size 36
		.amdhsa_user_sgpr_count 6
		.amdhsa_user_sgpr_private_segment_buffer 1
		.amdhsa_user_sgpr_dispatch_ptr 0
		.amdhsa_user_sgpr_queue_ptr 0
		.amdhsa_user_sgpr_kernarg_segment_ptr 1
		.amdhsa_user_sgpr_dispatch_id 0
		.amdhsa_user_sgpr_flat_scratch_init 0
		.amdhsa_user_sgpr_private_segment_size 0
		.amdhsa_uses_dynamic_stack 0
		.amdhsa_system_sgpr_private_segment_wavefront_offset 0
		.amdhsa_system_sgpr_workgroup_id_x 1
		.amdhsa_system_sgpr_workgroup_id_y 0
		.amdhsa_system_sgpr_workgroup_id_z 0
		.amdhsa_system_sgpr_workgroup_info 0
		.amdhsa_system_vgpr_workitem_id 0
		.amdhsa_next_free_vgpr 10
		.amdhsa_next_free_sgpr 22
		.amdhsa_reserve_vcc 1
		.amdhsa_reserve_flat_scratch 0
		.amdhsa_float_round_mode_32 0
		.amdhsa_float_round_mode_16_64 0
		.amdhsa_float_denorm_mode_32 3
		.amdhsa_float_denorm_mode_16_64 3
		.amdhsa_dx10_clamp 1
		.amdhsa_ieee_mode 1
		.amdhsa_fp16_overflow 0
		.amdhsa_exception_fp_ieee_invalid_op 0
		.amdhsa_exception_fp_denorm_src 0
		.amdhsa_exception_fp_ieee_div_zero 0
		.amdhsa_exception_fp_ieee_overflow 0
		.amdhsa_exception_fp_ieee_underflow 0
		.amdhsa_exception_fp_ieee_inexact 0
		.amdhsa_exception_int_div_zero 0
	.end_amdhsa_kernel
	.section	.text._ZN9rocsparseL14csr2coo_kernelILj256ELj2EilEEvT2_PKT1_S4_PS1_21rocsparse_index_base_,"axG",@progbits,_ZN9rocsparseL14csr2coo_kernelILj256ELj2EilEEvT2_PKT1_S4_PS1_21rocsparse_index_base_,comdat
.Lfunc_end16:
	.size	_ZN9rocsparseL14csr2coo_kernelILj256ELj2EilEEvT2_PKT1_S4_PS1_21rocsparse_index_base_, .Lfunc_end16-_ZN9rocsparseL14csr2coo_kernelILj256ELj2EilEEvT2_PKT1_S4_PS1_21rocsparse_index_base_
                                        ; -- End function
	.set _ZN9rocsparseL14csr2coo_kernelILj256ELj2EilEEvT2_PKT1_S4_PS1_21rocsparse_index_base_.num_vgpr, 10
	.set _ZN9rocsparseL14csr2coo_kernelILj256ELj2EilEEvT2_PKT1_S4_PS1_21rocsparse_index_base_.num_agpr, 0
	.set _ZN9rocsparseL14csr2coo_kernelILj256ELj2EilEEvT2_PKT1_S4_PS1_21rocsparse_index_base_.numbered_sgpr, 22
	.set _ZN9rocsparseL14csr2coo_kernelILj256ELj2EilEEvT2_PKT1_S4_PS1_21rocsparse_index_base_.num_named_barrier, 0
	.set _ZN9rocsparseL14csr2coo_kernelILj256ELj2EilEEvT2_PKT1_S4_PS1_21rocsparse_index_base_.private_seg_size, 0
	.set _ZN9rocsparseL14csr2coo_kernelILj256ELj2EilEEvT2_PKT1_S4_PS1_21rocsparse_index_base_.uses_vcc, 1
	.set _ZN9rocsparseL14csr2coo_kernelILj256ELj2EilEEvT2_PKT1_S4_PS1_21rocsparse_index_base_.uses_flat_scratch, 0
	.set _ZN9rocsparseL14csr2coo_kernelILj256ELj2EilEEvT2_PKT1_S4_PS1_21rocsparse_index_base_.has_dyn_sized_stack, 0
	.set _ZN9rocsparseL14csr2coo_kernelILj256ELj2EilEEvT2_PKT1_S4_PS1_21rocsparse_index_base_.has_recursion, 0
	.set _ZN9rocsparseL14csr2coo_kernelILj256ELj2EilEEvT2_PKT1_S4_PS1_21rocsparse_index_base_.has_indirect_call, 0
	.section	.AMDGPU.csdata,"",@progbits
; Kernel info:
; codeLenInByte = 920
; TotalNumSgprs: 26
; NumVgprs: 10
; ScratchSize: 0
; MemoryBound: 0
; FloatMode: 240
; IeeeMode: 1
; LDSByteSize: 516 bytes/workgroup (compile time only)
; SGPRBlocks: 3
; VGPRBlocks: 2
; NumSGPRsForWavesPerEU: 26
; NumVGPRsForWavesPerEU: 10
; Occupancy: 10
; WaveLimiterHint : 0
; COMPUTE_PGM_RSRC2:SCRATCH_EN: 0
; COMPUTE_PGM_RSRC2:USER_SGPR: 6
; COMPUTE_PGM_RSRC2:TRAP_HANDLER: 0
; COMPUTE_PGM_RSRC2:TGID_X_EN: 1
; COMPUTE_PGM_RSRC2:TGID_Y_EN: 0
; COMPUTE_PGM_RSRC2:TGID_Z_EN: 0
; COMPUTE_PGM_RSRC2:TIDIG_COMP_CNT: 0
	.section	.text._ZN9rocsparseL14csr2coo_kernelILj256ELj4EilEEvT2_PKT1_S4_PS1_21rocsparse_index_base_,"axG",@progbits,_ZN9rocsparseL14csr2coo_kernelILj256ELj4EilEEvT2_PKT1_S4_PS1_21rocsparse_index_base_,comdat
	.globl	_ZN9rocsparseL14csr2coo_kernelILj256ELj4EilEEvT2_PKT1_S4_PS1_21rocsparse_index_base_ ; -- Begin function _ZN9rocsparseL14csr2coo_kernelILj256ELj4EilEEvT2_PKT1_S4_PS1_21rocsparse_index_base_
	.p2align	8
	.type	_ZN9rocsparseL14csr2coo_kernelILj256ELj4EilEEvT2_PKT1_S4_PS1_21rocsparse_index_base_,@function
_ZN9rocsparseL14csr2coo_kernelILj256ELj4EilEEvT2_PKT1_S4_PS1_21rocsparse_index_base_: ; @_ZN9rocsparseL14csr2coo_kernelILj256ELj4EilEEvT2_PKT1_S4_PS1_21rocsparse_index_base_
; %bb.0:
	s_load_dwordx8 s[8:15], s[4:5], 0x0
	s_load_dword s16, s[4:5], 0x20
	v_lshrrev_b32_e32 v7, 2, v0
	v_mov_b32_e32 v1, 1
	v_mov_b32_e32 v2, 0
	s_lshl_b32 s17, s6, 6
	ds_write_b32 v2, v1 offset:256
	v_or_b32_e32 v1, s17, v7
	s_waitcnt lgkmcnt(0)
	v_cmp_gt_i64_e32 vcc, s[8:9], v[1:2]
	v_lshlrev_b64 v[3:4], 2, v[1:2]
	v_mov_b32_e32 v5, v2
	s_barrier
	s_and_saveexec_b64 s[2:3], vcc
	s_cbranch_execz .LBB17_2
; %bb.1:
	v_mov_b32_e32 v6, s11
	v_add_co_u32_e64 v5, s[0:1], s10, v3
	v_addc_co_u32_e64 v6, s[0:1], v6, v4, s[0:1]
	global_load_dword v5, v[5:6], off
	s_waitcnt vmcnt(0)
	v_subrev_u32_e32 v5, s16, v5
.LBB17_2:
	s_or_b64 exec, exec, s[2:3]
	s_and_saveexec_b64 s[0:1], vcc
	s_cbranch_execz .LBB17_4
; %bb.3:
	v_mov_b32_e32 v6, s13
	v_add_co_u32_e32 v2, vcc, s12, v3
	v_addc_co_u32_e32 v3, vcc, v6, v4, vcc
	global_load_dword v2, v[2:3], off
	s_waitcnt vmcnt(0)
	v_subrev_u32_e32 v2, s16, v2
.LBB17_4:
	s_or_b64 exec, exec, s[0:1]
	v_sub_u32_e32 v3, v2, v5
	v_cmp_gt_u32_e32 vcc, 33, v3
	v_cmp_lt_u32_e64 s[0:1], 32, v3
	s_and_saveexec_b64 s[2:3], s[0:1]
	s_xor_b64 s[0:1], exec, s[2:3]
; %bb.5:
	v_mov_b32_e32 v1, 0
	ds_write_b32 v1, v1 offset:256
                                        ; implicit-def: $vgpr5
                                        ; implicit-def: $vgpr2
; %bb.6:
	s_andn2_saveexec_b64 s[2:3], s[0:1]
	s_cbranch_execz .LBB17_11
; %bb.7:
	v_and_b32_e32 v3, 3, v0
	v_add_u32_e32 v3, v5, v3
	v_cmp_lt_i32_e64 s[0:1], v3, v2
	s_and_saveexec_b64 s[4:5], s[0:1]
	s_cbranch_execz .LBB17_10
; %bb.8:
	v_add_co_u32_e64 v5, s[0:1], s16, v1
	v_addc_co_u32_e64 v6, s[0:1], 0, 0, s[0:1]
	s_mov_b64 s[6:7], 0
	v_mov_b32_e32 v1, s15
.LBB17_9:                               ; =>This Inner Loop Header: Depth=1
	v_ashrrev_i32_e32 v4, 31, v3
	v_lshlrev_b64 v[8:9], 3, v[3:4]
	v_add_u32_e32 v3, 4, v3
	v_add_co_u32_e64 v8, s[0:1], s14, v8
	v_addc_co_u32_e64 v9, s[0:1], v1, v9, s[0:1]
	v_cmp_ge_i32_e64 s[0:1], v3, v2
	s_or_b64 s[6:7], s[0:1], s[6:7]
	global_store_dwordx2 v[8:9], v[5:6], off
	s_andn2_b64 exec, exec, s[6:7]
	s_cbranch_execnz .LBB17_9
.LBB17_10:
	s_or_b64 exec, exec, s[4:5]
.LBB17_11:
	s_or_b64 exec, exec, s[2:3]
	v_cndmask_b32_e64 v1, 0, 1, vcc
	v_lshlrev_b32_e32 v2, 2, v7
	ds_write_b32 v2, v1
	v_mov_b32_e32 v1, 0
	s_waitcnt vmcnt(0) lgkmcnt(0)
	s_barrier
	ds_read_b32 v1, v1 offset:256
	s_mov_b32 s3, 0
	s_waitcnt lgkmcnt(0)
	v_cmp_ne_u32_e32 vcc, 0, v1
	s_cbranch_vccz .LBB17_13
.LBB17_12:
	s_endpgm
.LBB17_13:
	s_or_b32 s18, s17, 1
	s_mov_b32 s19, 0
	s_branch .LBB17_16
.LBB17_14:                              ;   in Loop: Header=BB17_16 Depth=1
	s_or_b64 exec, exec, s[0:1]
.LBB17_15:                              ;   in Loop: Header=BB17_16 Depth=1
	s_add_i32 s19, s19, 2
	s_cmp_lg_u32 s19, 64
	s_cbranch_scc0 .LBB17_12
.LBB17_16:                              ; =>This Loop Header: Depth=1
                                        ;     Child Loop BB17_23 Depth 2
                                        ;     Child Loop BB17_32 Depth 2
	s_lshl_b32 s20, s19, 2
	v_mov_b32_e32 v1, s20
	ds_read_b32 v1, v1
	s_waitcnt lgkmcnt(0)
	v_cmp_ne_u32_e32 vcc, 0, v1
	s_cbranch_vccnz .LBB17_25
; %bb.17:                               ;   in Loop: Header=BB17_16 Depth=1
	s_or_b32 s2, s19, s17
	v_mov_b32_e32 v1, s2
	v_mov_b32_e32 v2, s3
	v_cmp_le_i64_e32 vcc, s[8:9], v[1:2]
	v_cmp_gt_i64_e64 s[0:1], s[8:9], v[1:2]
	s_mov_b32 s21, 0
	s_mov_b32 s4, 0
	s_cbranch_vccz .LBB17_20
; %bb.18:                               ;   in Loop: Header=BB17_16 Depth=1
	s_andn2_b64 vcc, exec, s[0:1]
	s_cbranch_vccz .LBB17_21
.LBB17_19:                              ;   in Loop: Header=BB17_16 Depth=1
	v_add_u32_e32 v1, s4, v0
	v_cmp_gt_i32_e32 vcc, s21, v1
	s_and_saveexec_b64 s[0:1], vcc
	s_cbranch_execnz .LBB17_22
	s_branch .LBB17_24
.LBB17_20:                              ;   in Loop: Header=BB17_16 Depth=1
	s_lshl_b64 s[4:5], s[2:3], 2
	s_add_u32 s4, s10, s4
	s_addc_u32 s5, s11, s5
	s_load_dword s4, s[4:5], 0x0
	s_waitcnt lgkmcnt(0)
	s_sub_i32 s4, s4, s16
	s_andn2_b64 vcc, exec, s[0:1]
	s_cbranch_vccnz .LBB17_19
.LBB17_21:                              ;   in Loop: Header=BB17_16 Depth=1
	s_lshl_b64 s[0:1], s[2:3], 2
	s_add_u32 s0, s12, s0
	s_addc_u32 s1, s13, s1
	s_load_dword s0, s[0:1], 0x0
	s_waitcnt lgkmcnt(0)
	s_sub_i32 s21, s0, s16
	v_add_u32_e32 v1, s4, v0
	v_cmp_gt_i32_e32 vcc, s21, v1
	s_and_saveexec_b64 s[0:1], vcc
	s_cbranch_execz .LBB17_24
.LBB17_22:                              ;   in Loop: Header=BB17_16 Depth=1
	s_add_u32 s4, s2, s16
	s_addc_u32 s5, 0, 0
	s_mov_b64 s[6:7], 0
.LBB17_23:                              ;   Parent Loop BB17_16 Depth=1
                                        ; =>  This Inner Loop Header: Depth=2
	v_ashrrev_i32_e32 v2, 31, v1
	v_lshlrev_b64 v[2:3], 3, v[1:2]
	v_mov_b32_e32 v4, s15
	v_add_co_u32_e32 v2, vcc, s14, v2
	v_addc_co_u32_e32 v3, vcc, v4, v3, vcc
	v_add_u32_e32 v1, 0x100, v1
	v_mov_b32_e32 v4, s4
	v_cmp_le_i32_e32 vcc, s21, v1
	v_mov_b32_e32 v5, s5
	s_or_b64 s[6:7], vcc, s[6:7]
	global_store_dwordx2 v[2:3], v[4:5], off
	s_andn2_b64 exec, exec, s[6:7]
	s_cbranch_execnz .LBB17_23
.LBB17_24:                              ;   in Loop: Header=BB17_16 Depth=1
	s_or_b64 exec, exec, s[0:1]
.LBB17_25:                              ;   in Loop: Header=BB17_16 Depth=1
	v_mov_b32_e32 v1, s20
	ds_read_b32 v1, v1 offset:4
	s_waitcnt lgkmcnt(0)
	v_cmp_ne_u32_e32 vcc, 0, v1
	s_cbranch_vccnz .LBB17_15
; %bb.26:                               ;   in Loop: Header=BB17_16 Depth=1
	s_or_b32 s2, s19, s18
	v_mov_b32_e32 v1, s2
	v_mov_b32_e32 v2, s3
	v_cmp_le_i64_e32 vcc, s[8:9], v[1:2]
	v_cmp_gt_i64_e64 s[0:1], s[8:9], v[1:2]
	s_mov_b32 s20, 0
	s_mov_b32 s4, 0
	s_cbranch_vccz .LBB17_29
; %bb.27:                               ;   in Loop: Header=BB17_16 Depth=1
	s_andn2_b64 vcc, exec, s[0:1]
	s_cbranch_vccz .LBB17_30
.LBB17_28:                              ;   in Loop: Header=BB17_16 Depth=1
	v_add_u32_e32 v1, s4, v0
	v_cmp_gt_i32_e32 vcc, s20, v1
	s_and_saveexec_b64 s[0:1], vcc
	s_cbranch_execz .LBB17_14
	s_branch .LBB17_31
.LBB17_29:                              ;   in Loop: Header=BB17_16 Depth=1
	s_add_u32 s4, s19, s17
	s_addc_u32 s5, 0, 0
	s_lshl_b64 s[4:5], s[4:5], 2
	s_add_u32 s4, s10, s4
	s_addc_u32 s5, s11, s5
	s_load_dword s4, s[4:5], 0x4
	s_waitcnt lgkmcnt(0)
	s_sub_i32 s4, s4, s16
	s_andn2_b64 vcc, exec, s[0:1]
	s_cbranch_vccnz .LBB17_28
.LBB17_30:                              ;   in Loop: Header=BB17_16 Depth=1
	s_add_u32 s0, s19, s17
	s_addc_u32 s1, 0, 0
	s_lshl_b64 s[0:1], s[0:1], 2
	s_add_u32 s0, s12, s0
	s_addc_u32 s1, s13, s1
	s_load_dword s0, s[0:1], 0x4
	s_waitcnt lgkmcnt(0)
	s_sub_i32 s20, s0, s16
	v_add_u32_e32 v1, s4, v0
	v_cmp_gt_i32_e32 vcc, s20, v1
	s_and_saveexec_b64 s[0:1], vcc
	s_cbranch_execz .LBB17_14
.LBB17_31:                              ;   in Loop: Header=BB17_16 Depth=1
	s_add_u32 s4, s2, s16
	s_addc_u32 s5, 0, 0
	s_mov_b64 s[6:7], 0
.LBB17_32:                              ;   Parent Loop BB17_16 Depth=1
                                        ; =>  This Inner Loop Header: Depth=2
	v_ashrrev_i32_e32 v2, 31, v1
	v_lshlrev_b64 v[2:3], 3, v[1:2]
	v_mov_b32_e32 v4, s15
	v_add_co_u32_e32 v2, vcc, s14, v2
	v_addc_co_u32_e32 v3, vcc, v4, v3, vcc
	v_add_u32_e32 v1, 0x100, v1
	v_mov_b32_e32 v4, s4
	v_cmp_le_i32_e32 vcc, s20, v1
	v_mov_b32_e32 v5, s5
	s_or_b64 s[6:7], vcc, s[6:7]
	global_store_dwordx2 v[2:3], v[4:5], off
	s_andn2_b64 exec, exec, s[6:7]
	s_cbranch_execnz .LBB17_32
	s_branch .LBB17_14
	.section	.rodata,"a",@progbits
	.p2align	6, 0x0
	.amdhsa_kernel _ZN9rocsparseL14csr2coo_kernelILj256ELj4EilEEvT2_PKT1_S4_PS1_21rocsparse_index_base_
		.amdhsa_group_segment_fixed_size 260
		.amdhsa_private_segment_fixed_size 0
		.amdhsa_kernarg_size 36
		.amdhsa_user_sgpr_count 6
		.amdhsa_user_sgpr_private_segment_buffer 1
		.amdhsa_user_sgpr_dispatch_ptr 0
		.amdhsa_user_sgpr_queue_ptr 0
		.amdhsa_user_sgpr_kernarg_segment_ptr 1
		.amdhsa_user_sgpr_dispatch_id 0
		.amdhsa_user_sgpr_flat_scratch_init 0
		.amdhsa_user_sgpr_private_segment_size 0
		.amdhsa_uses_dynamic_stack 0
		.amdhsa_system_sgpr_private_segment_wavefront_offset 0
		.amdhsa_system_sgpr_workgroup_id_x 1
		.amdhsa_system_sgpr_workgroup_id_y 0
		.amdhsa_system_sgpr_workgroup_id_z 0
		.amdhsa_system_sgpr_workgroup_info 0
		.amdhsa_system_vgpr_workitem_id 0
		.amdhsa_next_free_vgpr 10
		.amdhsa_next_free_sgpr 22
		.amdhsa_reserve_vcc 1
		.amdhsa_reserve_flat_scratch 0
		.amdhsa_float_round_mode_32 0
		.amdhsa_float_round_mode_16_64 0
		.amdhsa_float_denorm_mode_32 3
		.amdhsa_float_denorm_mode_16_64 3
		.amdhsa_dx10_clamp 1
		.amdhsa_ieee_mode 1
		.amdhsa_fp16_overflow 0
		.amdhsa_exception_fp_ieee_invalid_op 0
		.amdhsa_exception_fp_denorm_src 0
		.amdhsa_exception_fp_ieee_div_zero 0
		.amdhsa_exception_fp_ieee_overflow 0
		.amdhsa_exception_fp_ieee_underflow 0
		.amdhsa_exception_fp_ieee_inexact 0
		.amdhsa_exception_int_div_zero 0
	.end_amdhsa_kernel
	.section	.text._ZN9rocsparseL14csr2coo_kernelILj256ELj4EilEEvT2_PKT1_S4_PS1_21rocsparse_index_base_,"axG",@progbits,_ZN9rocsparseL14csr2coo_kernelILj256ELj4EilEEvT2_PKT1_S4_PS1_21rocsparse_index_base_,comdat
.Lfunc_end17:
	.size	_ZN9rocsparseL14csr2coo_kernelILj256ELj4EilEEvT2_PKT1_S4_PS1_21rocsparse_index_base_, .Lfunc_end17-_ZN9rocsparseL14csr2coo_kernelILj256ELj4EilEEvT2_PKT1_S4_PS1_21rocsparse_index_base_
                                        ; -- End function
	.set _ZN9rocsparseL14csr2coo_kernelILj256ELj4EilEEvT2_PKT1_S4_PS1_21rocsparse_index_base_.num_vgpr, 10
	.set _ZN9rocsparseL14csr2coo_kernelILj256ELj4EilEEvT2_PKT1_S4_PS1_21rocsparse_index_base_.num_agpr, 0
	.set _ZN9rocsparseL14csr2coo_kernelILj256ELj4EilEEvT2_PKT1_S4_PS1_21rocsparse_index_base_.numbered_sgpr, 22
	.set _ZN9rocsparseL14csr2coo_kernelILj256ELj4EilEEvT2_PKT1_S4_PS1_21rocsparse_index_base_.num_named_barrier, 0
	.set _ZN9rocsparseL14csr2coo_kernelILj256ELj4EilEEvT2_PKT1_S4_PS1_21rocsparse_index_base_.private_seg_size, 0
	.set _ZN9rocsparseL14csr2coo_kernelILj256ELj4EilEEvT2_PKT1_S4_PS1_21rocsparse_index_base_.uses_vcc, 1
	.set _ZN9rocsparseL14csr2coo_kernelILj256ELj4EilEEvT2_PKT1_S4_PS1_21rocsparse_index_base_.uses_flat_scratch, 0
	.set _ZN9rocsparseL14csr2coo_kernelILj256ELj4EilEEvT2_PKT1_S4_PS1_21rocsparse_index_base_.has_dyn_sized_stack, 0
	.set _ZN9rocsparseL14csr2coo_kernelILj256ELj4EilEEvT2_PKT1_S4_PS1_21rocsparse_index_base_.has_recursion, 0
	.set _ZN9rocsparseL14csr2coo_kernelILj256ELj4EilEEvT2_PKT1_S4_PS1_21rocsparse_index_base_.has_indirect_call, 0
	.section	.AMDGPU.csdata,"",@progbits
; Kernel info:
; codeLenInByte = 920
; TotalNumSgprs: 26
; NumVgprs: 10
; ScratchSize: 0
; MemoryBound: 0
; FloatMode: 240
; IeeeMode: 1
; LDSByteSize: 260 bytes/workgroup (compile time only)
; SGPRBlocks: 3
; VGPRBlocks: 2
; NumSGPRsForWavesPerEU: 26
; NumVGPRsForWavesPerEU: 10
; Occupancy: 10
; WaveLimiterHint : 0
; COMPUTE_PGM_RSRC2:SCRATCH_EN: 0
; COMPUTE_PGM_RSRC2:USER_SGPR: 6
; COMPUTE_PGM_RSRC2:TRAP_HANDLER: 0
; COMPUTE_PGM_RSRC2:TGID_X_EN: 1
; COMPUTE_PGM_RSRC2:TGID_Y_EN: 0
; COMPUTE_PGM_RSRC2:TGID_Z_EN: 0
; COMPUTE_PGM_RSRC2:TIDIG_COMP_CNT: 0
	.section	.text._ZN9rocsparseL14csr2coo_kernelILj256ELj8EilEEvT2_PKT1_S4_PS1_21rocsparse_index_base_,"axG",@progbits,_ZN9rocsparseL14csr2coo_kernelILj256ELj8EilEEvT2_PKT1_S4_PS1_21rocsparse_index_base_,comdat
	.globl	_ZN9rocsparseL14csr2coo_kernelILj256ELj8EilEEvT2_PKT1_S4_PS1_21rocsparse_index_base_ ; -- Begin function _ZN9rocsparseL14csr2coo_kernelILj256ELj8EilEEvT2_PKT1_S4_PS1_21rocsparse_index_base_
	.p2align	8
	.type	_ZN9rocsparseL14csr2coo_kernelILj256ELj8EilEEvT2_PKT1_S4_PS1_21rocsparse_index_base_,@function
_ZN9rocsparseL14csr2coo_kernelILj256ELj8EilEEvT2_PKT1_S4_PS1_21rocsparse_index_base_: ; @_ZN9rocsparseL14csr2coo_kernelILj256ELj8EilEEvT2_PKT1_S4_PS1_21rocsparse_index_base_
; %bb.0:
	s_load_dwordx8 s[8:15], s[4:5], 0x0
	s_load_dword s16, s[4:5], 0x20
	v_lshrrev_b32_e32 v7, 3, v0
	v_mov_b32_e32 v1, 1
	v_mov_b32_e32 v2, 0
	s_lshl_b32 s17, s6, 5
	ds_write_b32 v2, v1 offset:128
	v_or_b32_e32 v1, s17, v7
	s_waitcnt lgkmcnt(0)
	v_cmp_gt_i64_e32 vcc, s[8:9], v[1:2]
	v_lshlrev_b64 v[3:4], 2, v[1:2]
	v_mov_b32_e32 v5, v2
	s_barrier
	s_and_saveexec_b64 s[2:3], vcc
	s_cbranch_execz .LBB18_2
; %bb.1:
	v_mov_b32_e32 v6, s11
	v_add_co_u32_e64 v5, s[0:1], s10, v3
	v_addc_co_u32_e64 v6, s[0:1], v6, v4, s[0:1]
	global_load_dword v5, v[5:6], off
	s_waitcnt vmcnt(0)
	v_subrev_u32_e32 v5, s16, v5
.LBB18_2:
	s_or_b64 exec, exec, s[2:3]
	s_and_saveexec_b64 s[0:1], vcc
	s_cbranch_execz .LBB18_4
; %bb.3:
	v_mov_b32_e32 v6, s13
	v_add_co_u32_e32 v2, vcc, s12, v3
	v_addc_co_u32_e32 v3, vcc, v6, v4, vcc
	global_load_dword v2, v[2:3], off
	s_waitcnt vmcnt(0)
	v_subrev_u32_e32 v2, s16, v2
.LBB18_4:
	s_or_b64 exec, exec, s[0:1]
	v_sub_u32_e32 v3, v2, v5
	s_movk_i32 s0, 0x41
	v_cmp_gt_u32_e32 vcc, s0, v3
	v_cmp_lt_u32_e64 s[0:1], 64, v3
	s_and_saveexec_b64 s[2:3], s[0:1]
	s_xor_b64 s[0:1], exec, s[2:3]
; %bb.5:
	v_mov_b32_e32 v1, 0
	ds_write_b32 v1, v1 offset:128
                                        ; implicit-def: $vgpr5
                                        ; implicit-def: $vgpr2
; %bb.6:
	s_andn2_saveexec_b64 s[2:3], s[0:1]
	s_cbranch_execz .LBB18_11
; %bb.7:
	v_and_b32_e32 v3, 7, v0
	v_add_u32_e32 v3, v5, v3
	v_cmp_lt_i32_e64 s[0:1], v3, v2
	s_and_saveexec_b64 s[4:5], s[0:1]
	s_cbranch_execz .LBB18_10
; %bb.8:
	v_add_co_u32_e64 v5, s[0:1], s16, v1
	v_addc_co_u32_e64 v6, s[0:1], 0, 0, s[0:1]
	s_mov_b64 s[6:7], 0
	v_mov_b32_e32 v1, s15
.LBB18_9:                               ; =>This Inner Loop Header: Depth=1
	v_ashrrev_i32_e32 v4, 31, v3
	v_lshlrev_b64 v[8:9], 3, v[3:4]
	v_add_u32_e32 v3, 8, v3
	v_add_co_u32_e64 v8, s[0:1], s14, v8
	v_addc_co_u32_e64 v9, s[0:1], v1, v9, s[0:1]
	v_cmp_ge_i32_e64 s[0:1], v3, v2
	s_or_b64 s[6:7], s[0:1], s[6:7]
	global_store_dwordx2 v[8:9], v[5:6], off
	s_andn2_b64 exec, exec, s[6:7]
	s_cbranch_execnz .LBB18_9
.LBB18_10:
	s_or_b64 exec, exec, s[4:5]
.LBB18_11:
	s_or_b64 exec, exec, s[2:3]
	v_cndmask_b32_e64 v1, 0, 1, vcc
	v_lshlrev_b32_e32 v2, 2, v7
	ds_write_b32 v2, v1
	v_mov_b32_e32 v1, 0
	s_waitcnt vmcnt(0) lgkmcnt(0)
	s_barrier
	ds_read_b32 v1, v1 offset:128
	s_mov_b32 s3, 0
	s_waitcnt lgkmcnt(0)
	v_cmp_ne_u32_e32 vcc, 0, v1
	s_cbranch_vccz .LBB18_13
.LBB18_12:
	s_endpgm
.LBB18_13:
	s_or_b32 s18, s17, 1
	s_mov_b32 s19, 0
	s_branch .LBB18_16
.LBB18_14:                              ;   in Loop: Header=BB18_16 Depth=1
	s_or_b64 exec, exec, s[0:1]
.LBB18_15:                              ;   in Loop: Header=BB18_16 Depth=1
	s_add_i32 s19, s19, 2
	s_cmp_lg_u32 s19, 32
	s_cbranch_scc0 .LBB18_12
.LBB18_16:                              ; =>This Loop Header: Depth=1
                                        ;     Child Loop BB18_23 Depth 2
                                        ;     Child Loop BB18_32 Depth 2
	s_lshl_b32 s20, s19, 2
	v_mov_b32_e32 v1, s20
	ds_read_b32 v1, v1
	s_waitcnt lgkmcnt(0)
	v_cmp_ne_u32_e32 vcc, 0, v1
	s_cbranch_vccnz .LBB18_25
; %bb.17:                               ;   in Loop: Header=BB18_16 Depth=1
	s_or_b32 s2, s19, s17
	v_mov_b32_e32 v1, s2
	v_mov_b32_e32 v2, s3
	v_cmp_le_i64_e32 vcc, s[8:9], v[1:2]
	v_cmp_gt_i64_e64 s[0:1], s[8:9], v[1:2]
	s_mov_b32 s21, 0
	s_mov_b32 s4, 0
	s_cbranch_vccz .LBB18_20
; %bb.18:                               ;   in Loop: Header=BB18_16 Depth=1
	s_andn2_b64 vcc, exec, s[0:1]
	s_cbranch_vccz .LBB18_21
.LBB18_19:                              ;   in Loop: Header=BB18_16 Depth=1
	v_add_u32_e32 v1, s4, v0
	v_cmp_gt_i32_e32 vcc, s21, v1
	s_and_saveexec_b64 s[0:1], vcc
	s_cbranch_execnz .LBB18_22
	s_branch .LBB18_24
.LBB18_20:                              ;   in Loop: Header=BB18_16 Depth=1
	s_lshl_b64 s[4:5], s[2:3], 2
	s_add_u32 s4, s10, s4
	s_addc_u32 s5, s11, s5
	s_load_dword s4, s[4:5], 0x0
	s_waitcnt lgkmcnt(0)
	s_sub_i32 s4, s4, s16
	s_andn2_b64 vcc, exec, s[0:1]
	s_cbranch_vccnz .LBB18_19
.LBB18_21:                              ;   in Loop: Header=BB18_16 Depth=1
	s_lshl_b64 s[0:1], s[2:3], 2
	s_add_u32 s0, s12, s0
	s_addc_u32 s1, s13, s1
	s_load_dword s0, s[0:1], 0x0
	s_waitcnt lgkmcnt(0)
	s_sub_i32 s21, s0, s16
	v_add_u32_e32 v1, s4, v0
	v_cmp_gt_i32_e32 vcc, s21, v1
	s_and_saveexec_b64 s[0:1], vcc
	s_cbranch_execz .LBB18_24
.LBB18_22:                              ;   in Loop: Header=BB18_16 Depth=1
	s_add_u32 s4, s2, s16
	s_addc_u32 s5, 0, 0
	s_mov_b64 s[6:7], 0
.LBB18_23:                              ;   Parent Loop BB18_16 Depth=1
                                        ; =>  This Inner Loop Header: Depth=2
	v_ashrrev_i32_e32 v2, 31, v1
	v_lshlrev_b64 v[2:3], 3, v[1:2]
	v_mov_b32_e32 v4, s15
	v_add_co_u32_e32 v2, vcc, s14, v2
	v_addc_co_u32_e32 v3, vcc, v4, v3, vcc
	v_add_u32_e32 v1, 0x100, v1
	v_mov_b32_e32 v4, s4
	v_cmp_le_i32_e32 vcc, s21, v1
	v_mov_b32_e32 v5, s5
	s_or_b64 s[6:7], vcc, s[6:7]
	global_store_dwordx2 v[2:3], v[4:5], off
	s_andn2_b64 exec, exec, s[6:7]
	s_cbranch_execnz .LBB18_23
.LBB18_24:                              ;   in Loop: Header=BB18_16 Depth=1
	s_or_b64 exec, exec, s[0:1]
.LBB18_25:                              ;   in Loop: Header=BB18_16 Depth=1
	v_mov_b32_e32 v1, s20
	ds_read_b32 v1, v1 offset:4
	s_waitcnt lgkmcnt(0)
	v_cmp_ne_u32_e32 vcc, 0, v1
	s_cbranch_vccnz .LBB18_15
; %bb.26:                               ;   in Loop: Header=BB18_16 Depth=1
	s_or_b32 s2, s19, s18
	v_mov_b32_e32 v1, s2
	v_mov_b32_e32 v2, s3
	v_cmp_le_i64_e32 vcc, s[8:9], v[1:2]
	v_cmp_gt_i64_e64 s[0:1], s[8:9], v[1:2]
	s_mov_b32 s20, 0
	s_mov_b32 s4, 0
	s_cbranch_vccz .LBB18_29
; %bb.27:                               ;   in Loop: Header=BB18_16 Depth=1
	s_andn2_b64 vcc, exec, s[0:1]
	s_cbranch_vccz .LBB18_30
.LBB18_28:                              ;   in Loop: Header=BB18_16 Depth=1
	v_add_u32_e32 v1, s4, v0
	v_cmp_gt_i32_e32 vcc, s20, v1
	s_and_saveexec_b64 s[0:1], vcc
	s_cbranch_execz .LBB18_14
	s_branch .LBB18_31
.LBB18_29:                              ;   in Loop: Header=BB18_16 Depth=1
	s_add_u32 s4, s19, s17
	s_addc_u32 s5, 0, 0
	s_lshl_b64 s[4:5], s[4:5], 2
	s_add_u32 s4, s10, s4
	s_addc_u32 s5, s11, s5
	s_load_dword s4, s[4:5], 0x4
	s_waitcnt lgkmcnt(0)
	s_sub_i32 s4, s4, s16
	s_andn2_b64 vcc, exec, s[0:1]
	s_cbranch_vccnz .LBB18_28
.LBB18_30:                              ;   in Loop: Header=BB18_16 Depth=1
	s_add_u32 s0, s19, s17
	s_addc_u32 s1, 0, 0
	s_lshl_b64 s[0:1], s[0:1], 2
	s_add_u32 s0, s12, s0
	s_addc_u32 s1, s13, s1
	s_load_dword s0, s[0:1], 0x4
	s_waitcnt lgkmcnt(0)
	s_sub_i32 s20, s0, s16
	v_add_u32_e32 v1, s4, v0
	v_cmp_gt_i32_e32 vcc, s20, v1
	s_and_saveexec_b64 s[0:1], vcc
	s_cbranch_execz .LBB18_14
.LBB18_31:                              ;   in Loop: Header=BB18_16 Depth=1
	s_add_u32 s4, s2, s16
	s_addc_u32 s5, 0, 0
	s_mov_b64 s[6:7], 0
.LBB18_32:                              ;   Parent Loop BB18_16 Depth=1
                                        ; =>  This Inner Loop Header: Depth=2
	v_ashrrev_i32_e32 v2, 31, v1
	v_lshlrev_b64 v[2:3], 3, v[1:2]
	v_mov_b32_e32 v4, s15
	v_add_co_u32_e32 v2, vcc, s14, v2
	v_addc_co_u32_e32 v3, vcc, v4, v3, vcc
	v_add_u32_e32 v1, 0x100, v1
	v_mov_b32_e32 v4, s4
	v_cmp_le_i32_e32 vcc, s20, v1
	v_mov_b32_e32 v5, s5
	s_or_b64 s[6:7], vcc, s[6:7]
	global_store_dwordx2 v[2:3], v[4:5], off
	s_andn2_b64 exec, exec, s[6:7]
	s_cbranch_execnz .LBB18_32
	s_branch .LBB18_14
	.section	.rodata,"a",@progbits
	.p2align	6, 0x0
	.amdhsa_kernel _ZN9rocsparseL14csr2coo_kernelILj256ELj8EilEEvT2_PKT1_S4_PS1_21rocsparse_index_base_
		.amdhsa_group_segment_fixed_size 132
		.amdhsa_private_segment_fixed_size 0
		.amdhsa_kernarg_size 36
		.amdhsa_user_sgpr_count 6
		.amdhsa_user_sgpr_private_segment_buffer 1
		.amdhsa_user_sgpr_dispatch_ptr 0
		.amdhsa_user_sgpr_queue_ptr 0
		.amdhsa_user_sgpr_kernarg_segment_ptr 1
		.amdhsa_user_sgpr_dispatch_id 0
		.amdhsa_user_sgpr_flat_scratch_init 0
		.amdhsa_user_sgpr_private_segment_size 0
		.amdhsa_uses_dynamic_stack 0
		.amdhsa_system_sgpr_private_segment_wavefront_offset 0
		.amdhsa_system_sgpr_workgroup_id_x 1
		.amdhsa_system_sgpr_workgroup_id_y 0
		.amdhsa_system_sgpr_workgroup_id_z 0
		.amdhsa_system_sgpr_workgroup_info 0
		.amdhsa_system_vgpr_workitem_id 0
		.amdhsa_next_free_vgpr 10
		.amdhsa_next_free_sgpr 22
		.amdhsa_reserve_vcc 1
		.amdhsa_reserve_flat_scratch 0
		.amdhsa_float_round_mode_32 0
		.amdhsa_float_round_mode_16_64 0
		.amdhsa_float_denorm_mode_32 3
		.amdhsa_float_denorm_mode_16_64 3
		.amdhsa_dx10_clamp 1
		.amdhsa_ieee_mode 1
		.amdhsa_fp16_overflow 0
		.amdhsa_exception_fp_ieee_invalid_op 0
		.amdhsa_exception_fp_denorm_src 0
		.amdhsa_exception_fp_ieee_div_zero 0
		.amdhsa_exception_fp_ieee_overflow 0
		.amdhsa_exception_fp_ieee_underflow 0
		.amdhsa_exception_fp_ieee_inexact 0
		.amdhsa_exception_int_div_zero 0
	.end_amdhsa_kernel
	.section	.text._ZN9rocsparseL14csr2coo_kernelILj256ELj8EilEEvT2_PKT1_S4_PS1_21rocsparse_index_base_,"axG",@progbits,_ZN9rocsparseL14csr2coo_kernelILj256ELj8EilEEvT2_PKT1_S4_PS1_21rocsparse_index_base_,comdat
.Lfunc_end18:
	.size	_ZN9rocsparseL14csr2coo_kernelILj256ELj8EilEEvT2_PKT1_S4_PS1_21rocsparse_index_base_, .Lfunc_end18-_ZN9rocsparseL14csr2coo_kernelILj256ELj8EilEEvT2_PKT1_S4_PS1_21rocsparse_index_base_
                                        ; -- End function
	.set _ZN9rocsparseL14csr2coo_kernelILj256ELj8EilEEvT2_PKT1_S4_PS1_21rocsparse_index_base_.num_vgpr, 10
	.set _ZN9rocsparseL14csr2coo_kernelILj256ELj8EilEEvT2_PKT1_S4_PS1_21rocsparse_index_base_.num_agpr, 0
	.set _ZN9rocsparseL14csr2coo_kernelILj256ELj8EilEEvT2_PKT1_S4_PS1_21rocsparse_index_base_.numbered_sgpr, 22
	.set _ZN9rocsparseL14csr2coo_kernelILj256ELj8EilEEvT2_PKT1_S4_PS1_21rocsparse_index_base_.num_named_barrier, 0
	.set _ZN9rocsparseL14csr2coo_kernelILj256ELj8EilEEvT2_PKT1_S4_PS1_21rocsparse_index_base_.private_seg_size, 0
	.set _ZN9rocsparseL14csr2coo_kernelILj256ELj8EilEEvT2_PKT1_S4_PS1_21rocsparse_index_base_.uses_vcc, 1
	.set _ZN9rocsparseL14csr2coo_kernelILj256ELj8EilEEvT2_PKT1_S4_PS1_21rocsparse_index_base_.uses_flat_scratch, 0
	.set _ZN9rocsparseL14csr2coo_kernelILj256ELj8EilEEvT2_PKT1_S4_PS1_21rocsparse_index_base_.has_dyn_sized_stack, 0
	.set _ZN9rocsparseL14csr2coo_kernelILj256ELj8EilEEvT2_PKT1_S4_PS1_21rocsparse_index_base_.has_recursion, 0
	.set _ZN9rocsparseL14csr2coo_kernelILj256ELj8EilEEvT2_PKT1_S4_PS1_21rocsparse_index_base_.has_indirect_call, 0
	.section	.AMDGPU.csdata,"",@progbits
; Kernel info:
; codeLenInByte = 924
; TotalNumSgprs: 26
; NumVgprs: 10
; ScratchSize: 0
; MemoryBound: 0
; FloatMode: 240
; IeeeMode: 1
; LDSByteSize: 132 bytes/workgroup (compile time only)
; SGPRBlocks: 3
; VGPRBlocks: 2
; NumSGPRsForWavesPerEU: 26
; NumVGPRsForWavesPerEU: 10
; Occupancy: 10
; WaveLimiterHint : 0
; COMPUTE_PGM_RSRC2:SCRATCH_EN: 0
; COMPUTE_PGM_RSRC2:USER_SGPR: 6
; COMPUTE_PGM_RSRC2:TRAP_HANDLER: 0
; COMPUTE_PGM_RSRC2:TGID_X_EN: 1
; COMPUTE_PGM_RSRC2:TGID_Y_EN: 0
; COMPUTE_PGM_RSRC2:TGID_Z_EN: 0
; COMPUTE_PGM_RSRC2:TIDIG_COMP_CNT: 0
	.section	.text._ZN9rocsparseL14csr2coo_kernelILj256ELj16EilEEvT2_PKT1_S4_PS1_21rocsparse_index_base_,"axG",@progbits,_ZN9rocsparseL14csr2coo_kernelILj256ELj16EilEEvT2_PKT1_S4_PS1_21rocsparse_index_base_,comdat
	.globl	_ZN9rocsparseL14csr2coo_kernelILj256ELj16EilEEvT2_PKT1_S4_PS1_21rocsparse_index_base_ ; -- Begin function _ZN9rocsparseL14csr2coo_kernelILj256ELj16EilEEvT2_PKT1_S4_PS1_21rocsparse_index_base_
	.p2align	8
	.type	_ZN9rocsparseL14csr2coo_kernelILj256ELj16EilEEvT2_PKT1_S4_PS1_21rocsparse_index_base_,@function
_ZN9rocsparseL14csr2coo_kernelILj256ELj16EilEEvT2_PKT1_S4_PS1_21rocsparse_index_base_: ; @_ZN9rocsparseL14csr2coo_kernelILj256ELj16EilEEvT2_PKT1_S4_PS1_21rocsparse_index_base_
; %bb.0:
	s_load_dwordx8 s[8:15], s[4:5], 0x0
	s_load_dword s18, s[4:5], 0x20
	v_lshrrev_b32_e32 v7, 4, v0
	v_mov_b32_e32 v1, 1
	v_mov_b32_e32 v2, 0
	s_lshl_b32 s2, s6, 4
	ds_write_b32 v2, v1 offset:64
	v_or_b32_e32 v1, s2, v7
	s_waitcnt lgkmcnt(0)
	v_cmp_gt_i64_e32 vcc, s[8:9], v[1:2]
	v_lshlrev_b64 v[3:4], 2, v[1:2]
	v_mov_b32_e32 v5, v2
	s_barrier
	s_and_saveexec_b64 s[4:5], vcc
	s_cbranch_execz .LBB19_2
; %bb.1:
	v_mov_b32_e32 v6, s11
	v_add_co_u32_e64 v5, s[0:1], s10, v3
	v_addc_co_u32_e64 v6, s[0:1], v6, v4, s[0:1]
	global_load_dword v5, v[5:6], off
	s_waitcnt vmcnt(0)
	v_subrev_u32_e32 v5, s18, v5
.LBB19_2:
	s_or_b64 exec, exec, s[4:5]
	s_and_saveexec_b64 s[0:1], vcc
	s_cbranch_execz .LBB19_4
; %bb.3:
	v_mov_b32_e32 v6, s13
	v_add_co_u32_e32 v2, vcc, s12, v3
	v_addc_co_u32_e32 v3, vcc, v6, v4, vcc
	global_load_dword v2, v[2:3], off
	s_waitcnt vmcnt(0)
	v_subrev_u32_e32 v2, s18, v2
.LBB19_4:
	s_or_b64 exec, exec, s[0:1]
	v_sub_u32_e32 v3, v2, v5
	s_movk_i32 s0, 0x81
	v_cmp_gt_u32_e32 vcc, s0, v3
	s_movk_i32 s0, 0x80
	v_cmp_lt_u32_e64 s[0:1], s0, v3
	s_and_saveexec_b64 s[4:5], s[0:1]
	s_xor_b64 s[0:1], exec, s[4:5]
; %bb.5:
	v_mov_b32_e32 v1, 0
	ds_write_b32 v1, v1 offset:64
                                        ; implicit-def: $vgpr5
                                        ; implicit-def: $vgpr2
; %bb.6:
	s_andn2_saveexec_b64 s[4:5], s[0:1]
	s_cbranch_execz .LBB19_11
; %bb.7:
	v_and_b32_e32 v3, 15, v0
	v_add_u32_e32 v3, v5, v3
	v_cmp_lt_i32_e64 s[0:1], v3, v2
	s_and_saveexec_b64 s[6:7], s[0:1]
	s_cbranch_execz .LBB19_10
; %bb.8:
	v_add_co_u32_e64 v5, s[0:1], s18, v1
	v_addc_co_u32_e64 v6, s[0:1], 0, 0, s[0:1]
	s_mov_b64 s[16:17], 0
	v_mov_b32_e32 v1, s15
.LBB19_9:                               ; =>This Inner Loop Header: Depth=1
	v_ashrrev_i32_e32 v4, 31, v3
	v_lshlrev_b64 v[8:9], 3, v[3:4]
	v_add_u32_e32 v3, 16, v3
	v_add_co_u32_e64 v8, s[0:1], s14, v8
	v_addc_co_u32_e64 v9, s[0:1], v1, v9, s[0:1]
	v_cmp_ge_i32_e64 s[0:1], v3, v2
	s_or_b64 s[16:17], s[0:1], s[16:17]
	global_store_dwordx2 v[8:9], v[5:6], off
	s_andn2_b64 exec, exec, s[16:17]
	s_cbranch_execnz .LBB19_9
.LBB19_10:
	s_or_b64 exec, exec, s[6:7]
.LBB19_11:
	s_or_b64 exec, exec, s[4:5]
	v_cndmask_b32_e64 v1, 0, 1, vcc
	v_lshlrev_b32_e32 v2, 2, v7
	ds_write_b32 v2, v1
	v_mov_b32_e32 v1, 0
	s_waitcnt vmcnt(0) lgkmcnt(0)
	s_barrier
	ds_read_b32 v2, v1 offset:64
	s_waitcnt lgkmcnt(0)
	v_cmp_ne_u32_e32 vcc, 0, v2
	s_cbranch_vccnz .LBB19_155
; %bb.12:
	ds_read_b32 v1, v1
	s_mov_b32 s3, 0
	s_waitcnt lgkmcnt(0)
	v_cmp_ne_u32_e32 vcc, 0, v1
	s_cbranch_vccnz .LBB19_21
; %bb.13:
	v_mov_b32_e32 v1, s2
	v_mov_b32_e32 v2, s3
	v_cmp_le_i64_e32 vcc, s[8:9], v[1:2]
	v_cmp_gt_i64_e64 s[0:1], s[8:9], v[1:2]
	s_mov_b32 s6, 0
	s_mov_b32 s4, 0
	s_cbranch_vccz .LBB19_16
; %bb.14:
	s_andn2_b64 vcc, exec, s[0:1]
	s_cbranch_vccz .LBB19_17
.LBB19_15:
	v_add_u32_e32 v1, s4, v0
	v_cmp_gt_i32_e32 vcc, s6, v1
	s_and_saveexec_b64 s[0:1], vcc
	s_cbranch_execnz .LBB19_18
	s_branch .LBB19_20
.LBB19_16:
	s_lshl_b64 s[4:5], s[2:3], 2
	s_add_u32 s4, s10, s4
	s_addc_u32 s5, s11, s5
	s_load_dword s4, s[4:5], 0x0
	s_waitcnt lgkmcnt(0)
	s_sub_i32 s4, s4, s18
	s_andn2_b64 vcc, exec, s[0:1]
	s_cbranch_vccnz .LBB19_15
.LBB19_17:
	s_lshl_b64 s[0:1], s[2:3], 2
	s_add_u32 s0, s12, s0
	s_addc_u32 s1, s13, s1
	s_load_dword s0, s[0:1], 0x0
	s_waitcnt lgkmcnt(0)
	s_sub_i32 s6, s0, s18
	v_add_u32_e32 v1, s4, v0
	v_cmp_gt_i32_e32 vcc, s6, v1
	s_and_saveexec_b64 s[0:1], vcc
	s_cbranch_execz .LBB19_20
.LBB19_18:
	s_add_u32 s16, s2, s18
	s_addc_u32 s17, 0, 0
	v_mov_b32_e32 v3, s16
	s_mov_b64 s[4:5], 0
	v_mov_b32_e32 v5, s15
	v_mov_b32_e32 v4, s17
.LBB19_19:                              ; =>This Inner Loop Header: Depth=1
	v_ashrrev_i32_e32 v2, 31, v1
	v_lshlrev_b64 v[6:7], 3, v[1:2]
	v_add_u32_e32 v1, 0x100, v1
	v_add_co_u32_e32 v6, vcc, s14, v6
	v_addc_co_u32_e32 v7, vcc, v5, v7, vcc
	v_cmp_le_i32_e32 vcc, s6, v1
	s_or_b64 s[4:5], vcc, s[4:5]
	global_store_dwordx2 v[6:7], v[3:4], off
	s_andn2_b64 exec, exec, s[4:5]
	s_cbranch_execnz .LBB19_19
.LBB19_20:
	s_or_b64 exec, exec, s[0:1]
.LBB19_21:
	v_mov_b32_e32 v5, 0
	ds_read_b32 v1, v5 offset:4
	s_waitcnt lgkmcnt(0)
	v_cmp_ne_u32_e32 vcc, 0, v1
	s_cbranch_vccz .LBB19_23
; %bb.22:
	ds_read_b32 v1, v5 offset:8
	s_waitcnt lgkmcnt(0)
	v_cmp_ne_u32_e32 vcc, 0, v1
	s_cbranch_vccnz .LBB19_39
	s_branch .LBB19_31
.LBB19_23:
	s_or_b32 s4, s2, 1
	s_mov_b32 s5, s3
	v_mov_b32_e32 v1, s4
	v_mov_b32_e32 v2, s5
	v_cmp_le_i64_e32 vcc, s[8:9], v[1:2]
	v_cmp_gt_i64_e64 s[0:1], s[8:9], v[1:2]
	s_cbranch_vccz .LBB19_26
; %bb.24:
	s_andn2_b64 vcc, exec, s[0:1]
	s_mov_b32 s6, 0
	s_cbranch_vccz .LBB19_27
.LBB19_25:
	v_add_u32_e32 v1, s5, v0
	v_cmp_gt_i32_e32 vcc, s6, v1
	s_and_saveexec_b64 s[0:1], vcc
	s_cbranch_execnz .LBB19_28
	s_branch .LBB19_30
.LBB19_26:
	s_lshl_b64 s[6:7], s[2:3], 2
	s_add_u32 s6, s10, s6
	s_addc_u32 s7, s11, s7
	s_load_dword s5, s[6:7], 0x4
	s_waitcnt lgkmcnt(0)
	s_sub_i32 s5, s5, s18
	s_andn2_b64 vcc, exec, s[0:1]
	s_mov_b32 s6, 0
	s_cbranch_vccnz .LBB19_25
.LBB19_27:
	s_lshl_b64 s[0:1], s[2:3], 2
	s_add_u32 s0, s12, s0
	s_addc_u32 s1, s13, s1
	s_load_dword s0, s[0:1], 0x4
	s_waitcnt lgkmcnt(0)
	s_sub_i32 s6, s0, s18
	v_add_u32_e32 v1, s5, v0
	v_cmp_gt_i32_e32 vcc, s6, v1
	s_and_saveexec_b64 s[0:1], vcc
	s_cbranch_execz .LBB19_30
.LBB19_28:
	s_add_u32 s16, s4, s18
	s_addc_u32 s17, 0, 0
	v_mov_b32_e32 v3, s16
	s_mov_b64 s[4:5], 0
	v_mov_b32_e32 v6, s15
	v_mov_b32_e32 v4, s17
.LBB19_29:                              ; =>This Inner Loop Header: Depth=1
	v_ashrrev_i32_e32 v2, 31, v1
	v_lshlrev_b64 v[7:8], 3, v[1:2]
	v_add_u32_e32 v1, 0x100, v1
	v_add_co_u32_e32 v7, vcc, s14, v7
	v_addc_co_u32_e32 v8, vcc, v6, v8, vcc
	v_cmp_le_i32_e32 vcc, s6, v1
	s_or_b64 s[4:5], vcc, s[4:5]
	global_store_dwordx2 v[7:8], v[3:4], off
	s_andn2_b64 exec, exec, s[4:5]
	s_cbranch_execnz .LBB19_29
.LBB19_30:
	s_or_b64 exec, exec, s[0:1]
	ds_read_b32 v1, v5 offset:8
	s_waitcnt lgkmcnt(0)
	v_cmp_ne_u32_e32 vcc, 0, v1
	s_cbranch_vccnz .LBB19_39
.LBB19_31:
	s_or_b32 s4, s2, 2
	s_mov_b32 s5, 0
	v_mov_b32_e32 v1, s4
	v_mov_b32_e32 v2, s5
	v_cmp_le_i64_e32 vcc, s[8:9], v[1:2]
	v_cmp_gt_i64_e64 s[0:1], s[8:9], v[1:2]
	s_mov_b32 s6, s5
	s_cbranch_vccz .LBB19_34
; %bb.32:
	s_andn2_b64 vcc, exec, s[0:1]
	s_cbranch_vccz .LBB19_35
.LBB19_33:
	v_add_u32_e32 v1, s6, v0
	v_cmp_gt_i32_e32 vcc, s5, v1
	s_and_saveexec_b64 s[0:1], vcc
	s_cbranch_execnz .LBB19_36
	s_branch .LBB19_38
.LBB19_34:
	s_lshl_b64 s[6:7], s[2:3], 2
	s_add_u32 s6, s10, s6
	s_addc_u32 s7, s11, s7
	s_load_dword s6, s[6:7], 0x8
	s_waitcnt lgkmcnt(0)
	s_sub_i32 s6, s6, s18
	s_andn2_b64 vcc, exec, s[0:1]
	s_cbranch_vccnz .LBB19_33
.LBB19_35:
	s_lshl_b64 s[0:1], s[2:3], 2
	s_add_u32 s0, s12, s0
	s_addc_u32 s1, s13, s1
	s_load_dword s0, s[0:1], 0x8
	s_waitcnt lgkmcnt(0)
	s_sub_i32 s5, s0, s18
	v_add_u32_e32 v1, s6, v0
	v_cmp_gt_i32_e32 vcc, s5, v1
	s_and_saveexec_b64 s[0:1], vcc
	s_cbranch_execz .LBB19_38
.LBB19_36:
	s_add_u32 s16, s4, s18
	s_addc_u32 s17, 0, 0
	v_mov_b32_e32 v3, s16
	s_mov_b64 s[6:7], 0
	v_mov_b32_e32 v5, s15
	v_mov_b32_e32 v4, s17
.LBB19_37:                              ; =>This Inner Loop Header: Depth=1
	v_ashrrev_i32_e32 v2, 31, v1
	v_lshlrev_b64 v[6:7], 3, v[1:2]
	v_add_u32_e32 v1, 0x100, v1
	v_add_co_u32_e32 v6, vcc, s14, v6
	v_addc_co_u32_e32 v7, vcc, v5, v7, vcc
	v_cmp_le_i32_e32 vcc, s5, v1
	s_or_b64 s[6:7], vcc, s[6:7]
	global_store_dwordx2 v[6:7], v[3:4], off
	s_andn2_b64 exec, exec, s[6:7]
	s_cbranch_execnz .LBB19_37
.LBB19_38:
	s_or_b64 exec, exec, s[0:1]
.LBB19_39:
	v_mov_b32_e32 v5, 0
	ds_read_b32 v1, v5 offset:12
	s_mov_b32 s5, 0
	s_waitcnt lgkmcnt(0)
	v_cmp_ne_u32_e32 vcc, 0, v1
	s_cbranch_vccz .LBB19_41
; %bb.40:
	ds_read_b32 v1, v5 offset:16
	s_waitcnt lgkmcnt(0)
	v_cmp_ne_u32_e32 vcc, 0, v1
	s_cbranch_vccnz .LBB19_57
	s_branch .LBB19_49
.LBB19_41:
	s_or_b32 s4, s2, 3
	v_mov_b32_e32 v1, s4
	v_mov_b32_e32 v2, s5
	v_cmp_le_i64_e32 vcc, s[8:9], v[1:2]
	v_cmp_gt_i64_e64 s[0:1], s[8:9], v[1:2]
	s_cbranch_vccz .LBB19_44
; %bb.42:
	s_andn2_b64 vcc, exec, s[0:1]
	s_mov_b32 s6, 0
	s_cbranch_vccz .LBB19_45
.LBB19_43:
	v_add_u32_e32 v1, s5, v0
	v_cmp_gt_i32_e32 vcc, s6, v1
	s_and_saveexec_b64 s[0:1], vcc
	s_cbranch_execnz .LBB19_46
	s_branch .LBB19_48
.LBB19_44:
	s_lshl_b64 s[6:7], s[2:3], 2
	s_add_u32 s6, s10, s6
	s_addc_u32 s7, s11, s7
	s_load_dword s5, s[6:7], 0xc
	s_waitcnt lgkmcnt(0)
	s_sub_i32 s5, s5, s18
	s_andn2_b64 vcc, exec, s[0:1]
	s_mov_b32 s6, 0
	s_cbranch_vccnz .LBB19_43
.LBB19_45:
	s_lshl_b64 s[0:1], s[2:3], 2
	s_add_u32 s0, s12, s0
	s_addc_u32 s1, s13, s1
	s_load_dword s0, s[0:1], 0xc
	s_waitcnt lgkmcnt(0)
	s_sub_i32 s6, s0, s18
	v_add_u32_e32 v1, s5, v0
	v_cmp_gt_i32_e32 vcc, s6, v1
	s_and_saveexec_b64 s[0:1], vcc
	s_cbranch_execz .LBB19_48
.LBB19_46:
	s_add_u32 s16, s4, s18
	s_addc_u32 s17, 0, 0
	v_mov_b32_e32 v3, s16
	s_mov_b64 s[4:5], 0
	v_mov_b32_e32 v6, s15
	v_mov_b32_e32 v4, s17
.LBB19_47:                              ; =>This Inner Loop Header: Depth=1
	v_ashrrev_i32_e32 v2, 31, v1
	v_lshlrev_b64 v[7:8], 3, v[1:2]
	v_add_u32_e32 v1, 0x100, v1
	v_add_co_u32_e32 v7, vcc, s14, v7
	v_addc_co_u32_e32 v8, vcc, v6, v8, vcc
	v_cmp_le_i32_e32 vcc, s6, v1
	s_or_b64 s[4:5], vcc, s[4:5]
	global_store_dwordx2 v[7:8], v[3:4], off
	s_andn2_b64 exec, exec, s[4:5]
	s_cbranch_execnz .LBB19_47
.LBB19_48:
	s_or_b64 exec, exec, s[0:1]
	ds_read_b32 v1, v5 offset:16
	s_waitcnt lgkmcnt(0)
	v_cmp_ne_u32_e32 vcc, 0, v1
	s_cbranch_vccnz .LBB19_57
.LBB19_49:
	s_or_b32 s4, s2, 4
	s_mov_b32 s5, 0
	v_mov_b32_e32 v1, s4
	v_mov_b32_e32 v2, s5
	v_cmp_le_i64_e32 vcc, s[8:9], v[1:2]
	v_cmp_gt_i64_e64 s[0:1], s[8:9], v[1:2]
	s_mov_b32 s6, s5
	s_cbranch_vccz .LBB19_52
; %bb.50:
	s_andn2_b64 vcc, exec, s[0:1]
	s_cbranch_vccz .LBB19_53
.LBB19_51:
	v_add_u32_e32 v1, s6, v0
	v_cmp_gt_i32_e32 vcc, s5, v1
	s_and_saveexec_b64 s[0:1], vcc
	s_cbranch_execnz .LBB19_54
	s_branch .LBB19_56
.LBB19_52:
	s_lshl_b64 s[6:7], s[2:3], 2
	s_add_u32 s6, s10, s6
	s_addc_u32 s7, s11, s7
	s_load_dword s6, s[6:7], 0x10
	s_waitcnt lgkmcnt(0)
	s_sub_i32 s6, s6, s18
	s_andn2_b64 vcc, exec, s[0:1]
	s_cbranch_vccnz .LBB19_51
.LBB19_53:
	s_lshl_b64 s[0:1], s[2:3], 2
	s_add_u32 s0, s12, s0
	s_addc_u32 s1, s13, s1
	s_load_dword s0, s[0:1], 0x10
	s_waitcnt lgkmcnt(0)
	s_sub_i32 s5, s0, s18
	v_add_u32_e32 v1, s6, v0
	v_cmp_gt_i32_e32 vcc, s5, v1
	s_and_saveexec_b64 s[0:1], vcc
	s_cbranch_execz .LBB19_56
.LBB19_54:
	s_add_u32 s16, s4, s18
	s_addc_u32 s17, 0, 0
	v_mov_b32_e32 v3, s16
	s_mov_b64 s[6:7], 0
	v_mov_b32_e32 v5, s15
	v_mov_b32_e32 v4, s17
.LBB19_55:                              ; =>This Inner Loop Header: Depth=1
	v_ashrrev_i32_e32 v2, 31, v1
	v_lshlrev_b64 v[6:7], 3, v[1:2]
	v_add_u32_e32 v1, 0x100, v1
	v_add_co_u32_e32 v6, vcc, s14, v6
	v_addc_co_u32_e32 v7, vcc, v5, v7, vcc
	v_cmp_le_i32_e32 vcc, s5, v1
	s_or_b64 s[6:7], vcc, s[6:7]
	global_store_dwordx2 v[6:7], v[3:4], off
	s_andn2_b64 exec, exec, s[6:7]
	s_cbranch_execnz .LBB19_55
.LBB19_56:
	s_or_b64 exec, exec, s[0:1]
.LBB19_57:
	v_mov_b32_e32 v5, 0
	ds_read_b32 v1, v5 offset:20
	s_mov_b32 s5, 0
	s_waitcnt lgkmcnt(0)
	v_cmp_ne_u32_e32 vcc, 0, v1
	s_cbranch_vccz .LBB19_59
; %bb.58:
	ds_read_b32 v1, v5 offset:24
	s_waitcnt lgkmcnt(0)
	v_cmp_ne_u32_e32 vcc, 0, v1
	s_cbranch_vccnz .LBB19_75
	s_branch .LBB19_67
.LBB19_59:
	s_or_b32 s4, s2, 5
	v_mov_b32_e32 v1, s4
	v_mov_b32_e32 v2, s5
	v_cmp_le_i64_e32 vcc, s[8:9], v[1:2]
	v_cmp_gt_i64_e64 s[0:1], s[8:9], v[1:2]
	s_cbranch_vccz .LBB19_62
; %bb.60:
	s_andn2_b64 vcc, exec, s[0:1]
	s_mov_b32 s6, 0
	s_cbranch_vccz .LBB19_63
.LBB19_61:
	v_add_u32_e32 v1, s5, v0
	v_cmp_gt_i32_e32 vcc, s6, v1
	s_and_saveexec_b64 s[0:1], vcc
	s_cbranch_execnz .LBB19_64
	s_branch .LBB19_66
.LBB19_62:
	s_lshl_b64 s[6:7], s[2:3], 2
	s_add_u32 s6, s10, s6
	s_addc_u32 s7, s11, s7
	s_load_dword s5, s[6:7], 0x14
	s_waitcnt lgkmcnt(0)
	s_sub_i32 s5, s5, s18
	s_andn2_b64 vcc, exec, s[0:1]
	s_mov_b32 s6, 0
	s_cbranch_vccnz .LBB19_61
.LBB19_63:
	s_lshl_b64 s[0:1], s[2:3], 2
	s_add_u32 s0, s12, s0
	s_addc_u32 s1, s13, s1
	s_load_dword s0, s[0:1], 0x14
	s_waitcnt lgkmcnt(0)
	s_sub_i32 s6, s0, s18
	v_add_u32_e32 v1, s5, v0
	v_cmp_gt_i32_e32 vcc, s6, v1
	s_and_saveexec_b64 s[0:1], vcc
	s_cbranch_execz .LBB19_66
.LBB19_64:
	s_add_u32 s16, s4, s18
	s_addc_u32 s17, 0, 0
	v_mov_b32_e32 v3, s16
	s_mov_b64 s[4:5], 0
	v_mov_b32_e32 v6, s15
	v_mov_b32_e32 v4, s17
.LBB19_65:                              ; =>This Inner Loop Header: Depth=1
	v_ashrrev_i32_e32 v2, 31, v1
	v_lshlrev_b64 v[7:8], 3, v[1:2]
	v_add_u32_e32 v1, 0x100, v1
	v_add_co_u32_e32 v7, vcc, s14, v7
	v_addc_co_u32_e32 v8, vcc, v6, v8, vcc
	v_cmp_le_i32_e32 vcc, s6, v1
	s_or_b64 s[4:5], vcc, s[4:5]
	global_store_dwordx2 v[7:8], v[3:4], off
	s_andn2_b64 exec, exec, s[4:5]
	s_cbranch_execnz .LBB19_65
.LBB19_66:
	s_or_b64 exec, exec, s[0:1]
	ds_read_b32 v1, v5 offset:24
	s_waitcnt lgkmcnt(0)
	v_cmp_ne_u32_e32 vcc, 0, v1
	s_cbranch_vccnz .LBB19_75
.LBB19_67:
	s_or_b32 s4, s2, 6
	s_mov_b32 s5, 0
	v_mov_b32_e32 v1, s4
	v_mov_b32_e32 v2, s5
	v_cmp_le_i64_e32 vcc, s[8:9], v[1:2]
	v_cmp_gt_i64_e64 s[0:1], s[8:9], v[1:2]
	s_mov_b32 s6, s5
	s_cbranch_vccz .LBB19_70
; %bb.68:
	s_andn2_b64 vcc, exec, s[0:1]
	s_cbranch_vccz .LBB19_71
.LBB19_69:
	v_add_u32_e32 v1, s6, v0
	v_cmp_gt_i32_e32 vcc, s5, v1
	s_and_saveexec_b64 s[0:1], vcc
	s_cbranch_execnz .LBB19_72
	s_branch .LBB19_74
.LBB19_70:
	s_lshl_b64 s[6:7], s[2:3], 2
	s_add_u32 s6, s10, s6
	s_addc_u32 s7, s11, s7
	s_load_dword s6, s[6:7], 0x18
	s_waitcnt lgkmcnt(0)
	s_sub_i32 s6, s6, s18
	s_andn2_b64 vcc, exec, s[0:1]
	s_cbranch_vccnz .LBB19_69
.LBB19_71:
	s_lshl_b64 s[0:1], s[2:3], 2
	s_add_u32 s0, s12, s0
	s_addc_u32 s1, s13, s1
	s_load_dword s0, s[0:1], 0x18
	s_waitcnt lgkmcnt(0)
	s_sub_i32 s5, s0, s18
	v_add_u32_e32 v1, s6, v0
	v_cmp_gt_i32_e32 vcc, s5, v1
	s_and_saveexec_b64 s[0:1], vcc
	s_cbranch_execz .LBB19_74
.LBB19_72:
	s_add_u32 s16, s4, s18
	s_addc_u32 s17, 0, 0
	v_mov_b32_e32 v3, s16
	s_mov_b64 s[6:7], 0
	v_mov_b32_e32 v5, s15
	v_mov_b32_e32 v4, s17
.LBB19_73:                              ; =>This Inner Loop Header: Depth=1
	v_ashrrev_i32_e32 v2, 31, v1
	v_lshlrev_b64 v[6:7], 3, v[1:2]
	v_add_u32_e32 v1, 0x100, v1
	v_add_co_u32_e32 v6, vcc, s14, v6
	v_addc_co_u32_e32 v7, vcc, v5, v7, vcc
	v_cmp_le_i32_e32 vcc, s5, v1
	s_or_b64 s[6:7], vcc, s[6:7]
	global_store_dwordx2 v[6:7], v[3:4], off
	s_andn2_b64 exec, exec, s[6:7]
	s_cbranch_execnz .LBB19_73
.LBB19_74:
	s_or_b64 exec, exec, s[0:1]
.LBB19_75:
	v_mov_b32_e32 v5, 0
	ds_read_b32 v1, v5 offset:28
	s_mov_b32 s5, 0
	s_waitcnt lgkmcnt(0)
	v_cmp_ne_u32_e32 vcc, 0, v1
	s_cbranch_vccz .LBB19_77
; %bb.76:
	ds_read_b32 v1, v5 offset:32
	s_waitcnt lgkmcnt(0)
	v_cmp_ne_u32_e32 vcc, 0, v1
	s_cbranch_vccnz .LBB19_93
	s_branch .LBB19_85
.LBB19_77:
	s_or_b32 s4, s2, 7
	v_mov_b32_e32 v1, s4
	v_mov_b32_e32 v2, s5
	v_cmp_le_i64_e32 vcc, s[8:9], v[1:2]
	v_cmp_gt_i64_e64 s[0:1], s[8:9], v[1:2]
	s_cbranch_vccz .LBB19_80
; %bb.78:
	s_andn2_b64 vcc, exec, s[0:1]
	s_mov_b32 s6, 0
	s_cbranch_vccz .LBB19_81
.LBB19_79:
	v_add_u32_e32 v1, s5, v0
	v_cmp_gt_i32_e32 vcc, s6, v1
	s_and_saveexec_b64 s[0:1], vcc
	s_cbranch_execnz .LBB19_82
	s_branch .LBB19_84
.LBB19_80:
	s_lshl_b64 s[6:7], s[2:3], 2
	s_add_u32 s6, s10, s6
	s_addc_u32 s7, s11, s7
	s_load_dword s5, s[6:7], 0x1c
	s_waitcnt lgkmcnt(0)
	s_sub_i32 s5, s5, s18
	s_andn2_b64 vcc, exec, s[0:1]
	s_mov_b32 s6, 0
	s_cbranch_vccnz .LBB19_79
.LBB19_81:
	s_lshl_b64 s[0:1], s[2:3], 2
	s_add_u32 s0, s12, s0
	s_addc_u32 s1, s13, s1
	s_load_dword s0, s[0:1], 0x1c
	s_waitcnt lgkmcnt(0)
	s_sub_i32 s6, s0, s18
	v_add_u32_e32 v1, s5, v0
	v_cmp_gt_i32_e32 vcc, s6, v1
	s_and_saveexec_b64 s[0:1], vcc
	s_cbranch_execz .LBB19_84
.LBB19_82:
	s_add_u32 s16, s4, s18
	s_addc_u32 s17, 0, 0
	v_mov_b32_e32 v3, s16
	s_mov_b64 s[4:5], 0
	v_mov_b32_e32 v6, s15
	v_mov_b32_e32 v4, s17
.LBB19_83:                              ; =>This Inner Loop Header: Depth=1
	v_ashrrev_i32_e32 v2, 31, v1
	v_lshlrev_b64 v[7:8], 3, v[1:2]
	v_add_u32_e32 v1, 0x100, v1
	v_add_co_u32_e32 v7, vcc, s14, v7
	v_addc_co_u32_e32 v8, vcc, v6, v8, vcc
	v_cmp_le_i32_e32 vcc, s6, v1
	s_or_b64 s[4:5], vcc, s[4:5]
	global_store_dwordx2 v[7:8], v[3:4], off
	s_andn2_b64 exec, exec, s[4:5]
	s_cbranch_execnz .LBB19_83
.LBB19_84:
	s_or_b64 exec, exec, s[0:1]
	ds_read_b32 v1, v5 offset:32
	s_waitcnt lgkmcnt(0)
	v_cmp_ne_u32_e32 vcc, 0, v1
	s_cbranch_vccnz .LBB19_93
.LBB19_85:
	s_or_b32 s4, s2, 8
	s_mov_b32 s5, 0
	v_mov_b32_e32 v1, s4
	v_mov_b32_e32 v2, s5
	v_cmp_le_i64_e32 vcc, s[8:9], v[1:2]
	v_cmp_gt_i64_e64 s[0:1], s[8:9], v[1:2]
	s_mov_b32 s6, s5
	s_cbranch_vccz .LBB19_88
; %bb.86:
	s_andn2_b64 vcc, exec, s[0:1]
	s_cbranch_vccz .LBB19_89
.LBB19_87:
	v_add_u32_e32 v1, s6, v0
	v_cmp_gt_i32_e32 vcc, s5, v1
	s_and_saveexec_b64 s[0:1], vcc
	s_cbranch_execnz .LBB19_90
	s_branch .LBB19_92
.LBB19_88:
	s_lshl_b64 s[6:7], s[2:3], 2
	s_add_u32 s6, s10, s6
	s_addc_u32 s7, s11, s7
	s_load_dword s6, s[6:7], 0x20
	s_waitcnt lgkmcnt(0)
	s_sub_i32 s6, s6, s18
	s_andn2_b64 vcc, exec, s[0:1]
	s_cbranch_vccnz .LBB19_87
.LBB19_89:
	s_lshl_b64 s[0:1], s[2:3], 2
	s_add_u32 s0, s12, s0
	s_addc_u32 s1, s13, s1
	s_load_dword s0, s[0:1], 0x20
	s_waitcnt lgkmcnt(0)
	s_sub_i32 s5, s0, s18
	v_add_u32_e32 v1, s6, v0
	v_cmp_gt_i32_e32 vcc, s5, v1
	s_and_saveexec_b64 s[0:1], vcc
	s_cbranch_execz .LBB19_92
.LBB19_90:
	s_add_u32 s16, s4, s18
	s_addc_u32 s17, 0, 0
	v_mov_b32_e32 v3, s16
	s_mov_b64 s[6:7], 0
	v_mov_b32_e32 v5, s15
	v_mov_b32_e32 v4, s17
.LBB19_91:                              ; =>This Inner Loop Header: Depth=1
	v_ashrrev_i32_e32 v2, 31, v1
	v_lshlrev_b64 v[6:7], 3, v[1:2]
	v_add_u32_e32 v1, 0x100, v1
	v_add_co_u32_e32 v6, vcc, s14, v6
	v_addc_co_u32_e32 v7, vcc, v5, v7, vcc
	v_cmp_le_i32_e32 vcc, s5, v1
	s_or_b64 s[6:7], vcc, s[6:7]
	global_store_dwordx2 v[6:7], v[3:4], off
	s_andn2_b64 exec, exec, s[6:7]
	s_cbranch_execnz .LBB19_91
.LBB19_92:
	s_or_b64 exec, exec, s[0:1]
.LBB19_93:
	v_mov_b32_e32 v5, 0
	ds_read_b32 v1, v5 offset:36
	s_mov_b32 s5, 0
	s_waitcnt lgkmcnt(0)
	v_cmp_ne_u32_e32 vcc, 0, v1
	s_cbranch_vccz .LBB19_95
; %bb.94:
	ds_read_b32 v1, v5 offset:40
	s_waitcnt lgkmcnt(0)
	v_cmp_ne_u32_e32 vcc, 0, v1
	s_cbranch_vccnz .LBB19_111
	s_branch .LBB19_103
.LBB19_95:
	s_or_b32 s4, s2, 9
	v_mov_b32_e32 v1, s4
	v_mov_b32_e32 v2, s5
	v_cmp_le_i64_e32 vcc, s[8:9], v[1:2]
	v_cmp_gt_i64_e64 s[0:1], s[8:9], v[1:2]
	s_cbranch_vccz .LBB19_98
; %bb.96:
	s_andn2_b64 vcc, exec, s[0:1]
	s_mov_b32 s6, 0
	s_cbranch_vccz .LBB19_99
.LBB19_97:
	v_add_u32_e32 v1, s5, v0
	v_cmp_gt_i32_e32 vcc, s6, v1
	s_and_saveexec_b64 s[0:1], vcc
	s_cbranch_execnz .LBB19_100
	s_branch .LBB19_102
.LBB19_98:
	s_lshl_b64 s[6:7], s[2:3], 2
	s_add_u32 s6, s10, s6
	s_addc_u32 s7, s11, s7
	s_load_dword s5, s[6:7], 0x24
	s_waitcnt lgkmcnt(0)
	s_sub_i32 s5, s5, s18
	s_andn2_b64 vcc, exec, s[0:1]
	s_mov_b32 s6, 0
	s_cbranch_vccnz .LBB19_97
.LBB19_99:
	s_lshl_b64 s[0:1], s[2:3], 2
	s_add_u32 s0, s12, s0
	s_addc_u32 s1, s13, s1
	s_load_dword s0, s[0:1], 0x24
	s_waitcnt lgkmcnt(0)
	s_sub_i32 s6, s0, s18
	v_add_u32_e32 v1, s5, v0
	v_cmp_gt_i32_e32 vcc, s6, v1
	s_and_saveexec_b64 s[0:1], vcc
	s_cbranch_execz .LBB19_102
.LBB19_100:
	s_add_u32 s16, s4, s18
	s_addc_u32 s17, 0, 0
	v_mov_b32_e32 v3, s16
	s_mov_b64 s[4:5], 0
	v_mov_b32_e32 v6, s15
	v_mov_b32_e32 v4, s17
.LBB19_101:                             ; =>This Inner Loop Header: Depth=1
	v_ashrrev_i32_e32 v2, 31, v1
	v_lshlrev_b64 v[7:8], 3, v[1:2]
	v_add_u32_e32 v1, 0x100, v1
	v_add_co_u32_e32 v7, vcc, s14, v7
	v_addc_co_u32_e32 v8, vcc, v6, v8, vcc
	v_cmp_le_i32_e32 vcc, s6, v1
	s_or_b64 s[4:5], vcc, s[4:5]
	global_store_dwordx2 v[7:8], v[3:4], off
	s_andn2_b64 exec, exec, s[4:5]
	s_cbranch_execnz .LBB19_101
.LBB19_102:
	s_or_b64 exec, exec, s[0:1]
	ds_read_b32 v1, v5 offset:40
	s_waitcnt lgkmcnt(0)
	v_cmp_ne_u32_e32 vcc, 0, v1
	s_cbranch_vccnz .LBB19_111
.LBB19_103:
	s_or_b32 s4, s2, 10
	s_mov_b32 s5, 0
	v_mov_b32_e32 v1, s4
	v_mov_b32_e32 v2, s5
	v_cmp_le_i64_e32 vcc, s[8:9], v[1:2]
	v_cmp_gt_i64_e64 s[0:1], s[8:9], v[1:2]
	s_mov_b32 s6, s5
	s_cbranch_vccz .LBB19_106
; %bb.104:
	s_andn2_b64 vcc, exec, s[0:1]
	s_cbranch_vccz .LBB19_107
.LBB19_105:
	v_add_u32_e32 v1, s6, v0
	v_cmp_gt_i32_e32 vcc, s5, v1
	s_and_saveexec_b64 s[0:1], vcc
	s_cbranch_execnz .LBB19_108
	s_branch .LBB19_110
.LBB19_106:
	s_lshl_b64 s[6:7], s[2:3], 2
	s_add_u32 s6, s10, s6
	s_addc_u32 s7, s11, s7
	s_load_dword s6, s[6:7], 0x28
	s_waitcnt lgkmcnt(0)
	s_sub_i32 s6, s6, s18
	s_andn2_b64 vcc, exec, s[0:1]
	s_cbranch_vccnz .LBB19_105
.LBB19_107:
	s_lshl_b64 s[0:1], s[2:3], 2
	s_add_u32 s0, s12, s0
	s_addc_u32 s1, s13, s1
	s_load_dword s0, s[0:1], 0x28
	s_waitcnt lgkmcnt(0)
	s_sub_i32 s5, s0, s18
	v_add_u32_e32 v1, s6, v0
	v_cmp_gt_i32_e32 vcc, s5, v1
	s_and_saveexec_b64 s[0:1], vcc
	s_cbranch_execz .LBB19_110
.LBB19_108:
	s_add_u32 s16, s4, s18
	s_addc_u32 s17, 0, 0
	v_mov_b32_e32 v3, s16
	s_mov_b64 s[6:7], 0
	v_mov_b32_e32 v5, s15
	v_mov_b32_e32 v4, s17
.LBB19_109:                             ; =>This Inner Loop Header: Depth=1
	v_ashrrev_i32_e32 v2, 31, v1
	v_lshlrev_b64 v[6:7], 3, v[1:2]
	v_add_u32_e32 v1, 0x100, v1
	v_add_co_u32_e32 v6, vcc, s14, v6
	v_addc_co_u32_e32 v7, vcc, v5, v7, vcc
	v_cmp_le_i32_e32 vcc, s5, v1
	s_or_b64 s[6:7], vcc, s[6:7]
	global_store_dwordx2 v[6:7], v[3:4], off
	s_andn2_b64 exec, exec, s[6:7]
	s_cbranch_execnz .LBB19_109
.LBB19_110:
	s_or_b64 exec, exec, s[0:1]
.LBB19_111:
	v_mov_b32_e32 v5, 0
	ds_read_b32 v1, v5 offset:44
	s_mov_b32 s5, 0
	s_waitcnt lgkmcnt(0)
	v_cmp_ne_u32_e32 vcc, 0, v1
	s_cbranch_vccz .LBB19_113
; %bb.112:
	ds_read_b32 v1, v5 offset:48
	s_waitcnt lgkmcnt(0)
	v_cmp_ne_u32_e32 vcc, 0, v1
	s_cbranch_vccnz .LBB19_129
	s_branch .LBB19_121
.LBB19_113:
	s_or_b32 s4, s2, 11
	v_mov_b32_e32 v1, s4
	v_mov_b32_e32 v2, s5
	v_cmp_le_i64_e32 vcc, s[8:9], v[1:2]
	v_cmp_gt_i64_e64 s[0:1], s[8:9], v[1:2]
	s_cbranch_vccz .LBB19_116
; %bb.114:
	s_andn2_b64 vcc, exec, s[0:1]
	s_mov_b32 s6, 0
	s_cbranch_vccz .LBB19_117
.LBB19_115:
	v_add_u32_e32 v1, s5, v0
	v_cmp_gt_i32_e32 vcc, s6, v1
	s_and_saveexec_b64 s[0:1], vcc
	s_cbranch_execnz .LBB19_118
	s_branch .LBB19_120
.LBB19_116:
	s_lshl_b64 s[6:7], s[2:3], 2
	s_add_u32 s6, s10, s6
	s_addc_u32 s7, s11, s7
	s_load_dword s5, s[6:7], 0x2c
	s_waitcnt lgkmcnt(0)
	s_sub_i32 s5, s5, s18
	s_andn2_b64 vcc, exec, s[0:1]
	s_mov_b32 s6, 0
	s_cbranch_vccnz .LBB19_115
.LBB19_117:
	s_lshl_b64 s[0:1], s[2:3], 2
	s_add_u32 s0, s12, s0
	s_addc_u32 s1, s13, s1
	s_load_dword s0, s[0:1], 0x2c
	s_waitcnt lgkmcnt(0)
	s_sub_i32 s6, s0, s18
	v_add_u32_e32 v1, s5, v0
	v_cmp_gt_i32_e32 vcc, s6, v1
	s_and_saveexec_b64 s[0:1], vcc
	s_cbranch_execz .LBB19_120
.LBB19_118:
	s_add_u32 s16, s4, s18
	s_addc_u32 s17, 0, 0
	v_mov_b32_e32 v3, s16
	s_mov_b64 s[4:5], 0
	v_mov_b32_e32 v6, s15
	v_mov_b32_e32 v4, s17
.LBB19_119:                             ; =>This Inner Loop Header: Depth=1
	v_ashrrev_i32_e32 v2, 31, v1
	v_lshlrev_b64 v[7:8], 3, v[1:2]
	v_add_u32_e32 v1, 0x100, v1
	v_add_co_u32_e32 v7, vcc, s14, v7
	v_addc_co_u32_e32 v8, vcc, v6, v8, vcc
	v_cmp_le_i32_e32 vcc, s6, v1
	s_or_b64 s[4:5], vcc, s[4:5]
	global_store_dwordx2 v[7:8], v[3:4], off
	s_andn2_b64 exec, exec, s[4:5]
	s_cbranch_execnz .LBB19_119
.LBB19_120:
	s_or_b64 exec, exec, s[0:1]
	ds_read_b32 v1, v5 offset:48
	s_waitcnt lgkmcnt(0)
	v_cmp_ne_u32_e32 vcc, 0, v1
	s_cbranch_vccnz .LBB19_129
.LBB19_121:
	s_or_b32 s4, s2, 12
	s_mov_b32 s5, 0
	v_mov_b32_e32 v1, s4
	v_mov_b32_e32 v2, s5
	v_cmp_le_i64_e32 vcc, s[8:9], v[1:2]
	v_cmp_gt_i64_e64 s[0:1], s[8:9], v[1:2]
	s_mov_b32 s6, s5
	s_cbranch_vccz .LBB19_124
; %bb.122:
	s_andn2_b64 vcc, exec, s[0:1]
	s_cbranch_vccz .LBB19_125
.LBB19_123:
	v_add_u32_e32 v1, s6, v0
	v_cmp_gt_i32_e32 vcc, s5, v1
	s_and_saveexec_b64 s[0:1], vcc
	s_cbranch_execnz .LBB19_126
	s_branch .LBB19_128
.LBB19_124:
	s_lshl_b64 s[6:7], s[2:3], 2
	s_add_u32 s6, s10, s6
	s_addc_u32 s7, s11, s7
	s_load_dword s6, s[6:7], 0x30
	s_waitcnt lgkmcnt(0)
	s_sub_i32 s6, s6, s18
	s_andn2_b64 vcc, exec, s[0:1]
	s_cbranch_vccnz .LBB19_123
.LBB19_125:
	s_lshl_b64 s[0:1], s[2:3], 2
	s_add_u32 s0, s12, s0
	s_addc_u32 s1, s13, s1
	s_load_dword s0, s[0:1], 0x30
	s_waitcnt lgkmcnt(0)
	s_sub_i32 s5, s0, s18
	v_add_u32_e32 v1, s6, v0
	v_cmp_gt_i32_e32 vcc, s5, v1
	s_and_saveexec_b64 s[0:1], vcc
	s_cbranch_execz .LBB19_128
.LBB19_126:
	s_add_u32 s16, s4, s18
	s_addc_u32 s17, 0, 0
	v_mov_b32_e32 v3, s16
	s_mov_b64 s[6:7], 0
	v_mov_b32_e32 v5, s15
	v_mov_b32_e32 v4, s17
.LBB19_127:                             ; =>This Inner Loop Header: Depth=1
	v_ashrrev_i32_e32 v2, 31, v1
	v_lshlrev_b64 v[6:7], 3, v[1:2]
	v_add_u32_e32 v1, 0x100, v1
	v_add_co_u32_e32 v6, vcc, s14, v6
	v_addc_co_u32_e32 v7, vcc, v5, v7, vcc
	v_cmp_le_i32_e32 vcc, s5, v1
	s_or_b64 s[6:7], vcc, s[6:7]
	global_store_dwordx2 v[6:7], v[3:4], off
	s_andn2_b64 exec, exec, s[6:7]
	s_cbranch_execnz .LBB19_127
.LBB19_128:
	s_or_b64 exec, exec, s[0:1]
.LBB19_129:
	v_mov_b32_e32 v5, 0
	ds_read_b32 v1, v5 offset:52
	s_mov_b32 s5, 0
	s_waitcnt lgkmcnt(0)
	v_cmp_ne_u32_e32 vcc, 0, v1
	s_cbranch_vccz .LBB19_131
; %bb.130:
	ds_read_b32 v1, v5 offset:56
	s_waitcnt lgkmcnt(0)
	v_cmp_ne_u32_e32 vcc, 0, v1
	s_cbranch_vccnz .LBB19_147
	s_branch .LBB19_139
.LBB19_131:
	s_or_b32 s4, s2, 13
	v_mov_b32_e32 v1, s4
	v_mov_b32_e32 v2, s5
	v_cmp_le_i64_e32 vcc, s[8:9], v[1:2]
	v_cmp_gt_i64_e64 s[0:1], s[8:9], v[1:2]
	s_cbranch_vccz .LBB19_134
; %bb.132:
	s_andn2_b64 vcc, exec, s[0:1]
	s_mov_b32 s6, 0
	s_cbranch_vccz .LBB19_135
.LBB19_133:
	v_add_u32_e32 v1, s5, v0
	v_cmp_gt_i32_e32 vcc, s6, v1
	s_and_saveexec_b64 s[0:1], vcc
	s_cbranch_execnz .LBB19_136
	s_branch .LBB19_138
.LBB19_134:
	s_lshl_b64 s[6:7], s[2:3], 2
	s_add_u32 s6, s10, s6
	s_addc_u32 s7, s11, s7
	s_load_dword s5, s[6:7], 0x34
	s_waitcnt lgkmcnt(0)
	s_sub_i32 s5, s5, s18
	s_andn2_b64 vcc, exec, s[0:1]
	s_mov_b32 s6, 0
	s_cbranch_vccnz .LBB19_133
.LBB19_135:
	s_lshl_b64 s[0:1], s[2:3], 2
	s_add_u32 s0, s12, s0
	s_addc_u32 s1, s13, s1
	s_load_dword s0, s[0:1], 0x34
	s_waitcnt lgkmcnt(0)
	s_sub_i32 s6, s0, s18
	v_add_u32_e32 v1, s5, v0
	v_cmp_gt_i32_e32 vcc, s6, v1
	s_and_saveexec_b64 s[0:1], vcc
	s_cbranch_execz .LBB19_138
.LBB19_136:
	s_add_u32 s16, s4, s18
	s_addc_u32 s17, 0, 0
	v_mov_b32_e32 v3, s16
	s_mov_b64 s[4:5], 0
	v_mov_b32_e32 v6, s15
	v_mov_b32_e32 v4, s17
.LBB19_137:                             ; =>This Inner Loop Header: Depth=1
	v_ashrrev_i32_e32 v2, 31, v1
	v_lshlrev_b64 v[7:8], 3, v[1:2]
	v_add_u32_e32 v1, 0x100, v1
	v_add_co_u32_e32 v7, vcc, s14, v7
	v_addc_co_u32_e32 v8, vcc, v6, v8, vcc
	v_cmp_le_i32_e32 vcc, s6, v1
	s_or_b64 s[4:5], vcc, s[4:5]
	global_store_dwordx2 v[7:8], v[3:4], off
	s_andn2_b64 exec, exec, s[4:5]
	s_cbranch_execnz .LBB19_137
.LBB19_138:
	s_or_b64 exec, exec, s[0:1]
	ds_read_b32 v1, v5 offset:56
	s_waitcnt lgkmcnt(0)
	v_cmp_ne_u32_e32 vcc, 0, v1
	s_cbranch_vccnz .LBB19_147
.LBB19_139:
	s_or_b32 s4, s2, 14
	s_mov_b32 s5, 0
	v_mov_b32_e32 v1, s4
	v_mov_b32_e32 v2, s5
	v_cmp_le_i64_e32 vcc, s[8:9], v[1:2]
	v_cmp_gt_i64_e64 s[0:1], s[8:9], v[1:2]
	s_mov_b32 s6, s5
	s_cbranch_vccz .LBB19_142
; %bb.140:
	s_andn2_b64 vcc, exec, s[0:1]
	s_cbranch_vccz .LBB19_143
.LBB19_141:
	v_add_u32_e32 v1, s6, v0
	v_cmp_gt_i32_e32 vcc, s5, v1
	s_and_saveexec_b64 s[0:1], vcc
	s_cbranch_execnz .LBB19_144
	s_branch .LBB19_146
.LBB19_142:
	s_lshl_b64 s[6:7], s[2:3], 2
	s_add_u32 s6, s10, s6
	s_addc_u32 s7, s11, s7
	s_load_dword s6, s[6:7], 0x38
	s_waitcnt lgkmcnt(0)
	s_sub_i32 s6, s6, s18
	s_andn2_b64 vcc, exec, s[0:1]
	s_cbranch_vccnz .LBB19_141
.LBB19_143:
	s_lshl_b64 s[0:1], s[2:3], 2
	s_add_u32 s0, s12, s0
	s_addc_u32 s1, s13, s1
	s_load_dword s0, s[0:1], 0x38
	s_waitcnt lgkmcnt(0)
	s_sub_i32 s5, s0, s18
	v_add_u32_e32 v1, s6, v0
	v_cmp_gt_i32_e32 vcc, s5, v1
	s_and_saveexec_b64 s[0:1], vcc
	s_cbranch_execz .LBB19_146
.LBB19_144:
	s_add_u32 s16, s4, s18
	s_addc_u32 s17, 0, 0
	v_mov_b32_e32 v3, s16
	s_mov_b64 s[6:7], 0
	v_mov_b32_e32 v5, s15
	v_mov_b32_e32 v4, s17
.LBB19_145:                             ; =>This Inner Loop Header: Depth=1
	v_ashrrev_i32_e32 v2, 31, v1
	v_lshlrev_b64 v[6:7], 3, v[1:2]
	v_add_u32_e32 v1, 0x100, v1
	v_add_co_u32_e32 v6, vcc, s14, v6
	v_addc_co_u32_e32 v7, vcc, v5, v7, vcc
	v_cmp_le_i32_e32 vcc, s5, v1
	s_or_b64 s[6:7], vcc, s[6:7]
	global_store_dwordx2 v[6:7], v[3:4], off
	s_andn2_b64 exec, exec, s[6:7]
	s_cbranch_execnz .LBB19_145
.LBB19_146:
	s_or_b64 exec, exec, s[0:1]
.LBB19_147:
	v_mov_b32_e32 v1, 0
	ds_read_b32 v1, v1 offset:60
	s_mov_b32 s5, 0
	s_waitcnt lgkmcnt(0)
	v_cmp_ne_u32_e32 vcc, 0, v1
	s_cbranch_vccnz .LBB19_155
; %bb.148:
	s_or_b32 s4, s2, 15
	v_mov_b32_e32 v1, s4
	v_mov_b32_e32 v2, s5
	v_cmp_le_i64_e32 vcc, s[8:9], v[1:2]
	v_cmp_gt_i64_e64 s[0:1], s[8:9], v[1:2]
	s_cbranch_vccz .LBB19_151
; %bb.149:
	s_andn2_b64 vcc, exec, s[0:1]
	s_mov_b32 s6, 0
	s_cbranch_vccz .LBB19_152
.LBB19_150:
	v_add_u32_e32 v0, s5, v0
	v_cmp_gt_i32_e32 vcc, s6, v0
	s_and_saveexec_b64 s[0:1], vcc
	s_cbranch_execnz .LBB19_153
	s_branch .LBB19_155
.LBB19_151:
	s_lshl_b64 s[6:7], s[2:3], 2
	s_add_u32 s6, s10, s6
	s_addc_u32 s7, s11, s7
	s_load_dword s5, s[6:7], 0x3c
	s_waitcnt lgkmcnt(0)
	s_sub_i32 s5, s5, s18
	s_andn2_b64 vcc, exec, s[0:1]
	s_mov_b32 s6, 0
	s_cbranch_vccnz .LBB19_150
.LBB19_152:
	s_lshl_b64 s[0:1], s[2:3], 2
	s_add_u32 s0, s12, s0
	s_addc_u32 s1, s13, s1
	s_load_dword s0, s[0:1], 0x3c
	s_waitcnt lgkmcnt(0)
	s_sub_i32 s6, s0, s18
	v_add_u32_e32 v0, s5, v0
	v_cmp_gt_i32_e32 vcc, s6, v0
	s_and_saveexec_b64 s[0:1], vcc
	s_cbranch_execz .LBB19_155
.LBB19_153:
	s_add_u32 s2, s4, s18
	s_addc_u32 s3, 0, 0
	v_mov_b32_e32 v2, s2
	s_mov_b64 s[0:1], 0
	v_mov_b32_e32 v4, s15
	v_mov_b32_e32 v3, s3
.LBB19_154:                             ; =>This Inner Loop Header: Depth=1
	v_ashrrev_i32_e32 v1, 31, v0
	v_lshlrev_b64 v[5:6], 3, v[0:1]
	v_add_u32_e32 v0, 0x100, v0
	v_add_co_u32_e32 v5, vcc, s14, v5
	v_addc_co_u32_e32 v6, vcc, v4, v6, vcc
	v_cmp_le_i32_e32 vcc, s6, v0
	s_or_b64 s[0:1], vcc, s[0:1]
	global_store_dwordx2 v[5:6], v[2:3], off
	s_andn2_b64 exec, exec, s[0:1]
	s_cbranch_execnz .LBB19_154
.LBB19_155:
	s_endpgm
	.section	.rodata,"a",@progbits
	.p2align	6, 0x0
	.amdhsa_kernel _ZN9rocsparseL14csr2coo_kernelILj256ELj16EilEEvT2_PKT1_S4_PS1_21rocsparse_index_base_
		.amdhsa_group_segment_fixed_size 68
		.amdhsa_private_segment_fixed_size 0
		.amdhsa_kernarg_size 36
		.amdhsa_user_sgpr_count 6
		.amdhsa_user_sgpr_private_segment_buffer 1
		.amdhsa_user_sgpr_dispatch_ptr 0
		.amdhsa_user_sgpr_queue_ptr 0
		.amdhsa_user_sgpr_kernarg_segment_ptr 1
		.amdhsa_user_sgpr_dispatch_id 0
		.amdhsa_user_sgpr_flat_scratch_init 0
		.amdhsa_user_sgpr_private_segment_size 0
		.amdhsa_uses_dynamic_stack 0
		.amdhsa_system_sgpr_private_segment_wavefront_offset 0
		.amdhsa_system_sgpr_workgroup_id_x 1
		.amdhsa_system_sgpr_workgroup_id_y 0
		.amdhsa_system_sgpr_workgroup_id_z 0
		.amdhsa_system_sgpr_workgroup_info 0
		.amdhsa_system_vgpr_workitem_id 0
		.amdhsa_next_free_vgpr 10
		.amdhsa_next_free_sgpr 19
		.amdhsa_reserve_vcc 1
		.amdhsa_reserve_flat_scratch 0
		.amdhsa_float_round_mode_32 0
		.amdhsa_float_round_mode_16_64 0
		.amdhsa_float_denorm_mode_32 3
		.amdhsa_float_denorm_mode_16_64 3
		.amdhsa_dx10_clamp 1
		.amdhsa_ieee_mode 1
		.amdhsa_fp16_overflow 0
		.amdhsa_exception_fp_ieee_invalid_op 0
		.amdhsa_exception_fp_denorm_src 0
		.amdhsa_exception_fp_ieee_div_zero 0
		.amdhsa_exception_fp_ieee_overflow 0
		.amdhsa_exception_fp_ieee_underflow 0
		.amdhsa_exception_fp_ieee_inexact 0
		.amdhsa_exception_int_div_zero 0
	.end_amdhsa_kernel
	.section	.text._ZN9rocsparseL14csr2coo_kernelILj256ELj16EilEEvT2_PKT1_S4_PS1_21rocsparse_index_base_,"axG",@progbits,_ZN9rocsparseL14csr2coo_kernelILj256ELj16EilEEvT2_PKT1_S4_PS1_21rocsparse_index_base_,comdat
.Lfunc_end19:
	.size	_ZN9rocsparseL14csr2coo_kernelILj256ELj16EilEEvT2_PKT1_S4_PS1_21rocsparse_index_base_, .Lfunc_end19-_ZN9rocsparseL14csr2coo_kernelILj256ELj16EilEEvT2_PKT1_S4_PS1_21rocsparse_index_base_
                                        ; -- End function
	.set _ZN9rocsparseL14csr2coo_kernelILj256ELj16EilEEvT2_PKT1_S4_PS1_21rocsparse_index_base_.num_vgpr, 10
	.set _ZN9rocsparseL14csr2coo_kernelILj256ELj16EilEEvT2_PKT1_S4_PS1_21rocsparse_index_base_.num_agpr, 0
	.set _ZN9rocsparseL14csr2coo_kernelILj256ELj16EilEEvT2_PKT1_S4_PS1_21rocsparse_index_base_.numbered_sgpr, 19
	.set _ZN9rocsparseL14csr2coo_kernelILj256ELj16EilEEvT2_PKT1_S4_PS1_21rocsparse_index_base_.num_named_barrier, 0
	.set _ZN9rocsparseL14csr2coo_kernelILj256ELj16EilEEvT2_PKT1_S4_PS1_21rocsparse_index_base_.private_seg_size, 0
	.set _ZN9rocsparseL14csr2coo_kernelILj256ELj16EilEEvT2_PKT1_S4_PS1_21rocsparse_index_base_.uses_vcc, 1
	.set _ZN9rocsparseL14csr2coo_kernelILj256ELj16EilEEvT2_PKT1_S4_PS1_21rocsparse_index_base_.uses_flat_scratch, 0
	.set _ZN9rocsparseL14csr2coo_kernelILj256ELj16EilEEvT2_PKT1_S4_PS1_21rocsparse_index_base_.has_dyn_sized_stack, 0
	.set _ZN9rocsparseL14csr2coo_kernelILj256ELj16EilEEvT2_PKT1_S4_PS1_21rocsparse_index_base_.has_recursion, 0
	.set _ZN9rocsparseL14csr2coo_kernelILj256ELj16EilEEvT2_PKT1_S4_PS1_21rocsparse_index_base_.has_indirect_call, 0
	.section	.AMDGPU.csdata,"",@progbits
; Kernel info:
; codeLenInByte = 4512
; TotalNumSgprs: 23
; NumVgprs: 10
; ScratchSize: 0
; MemoryBound: 0
; FloatMode: 240
; IeeeMode: 1
; LDSByteSize: 68 bytes/workgroup (compile time only)
; SGPRBlocks: 2
; VGPRBlocks: 2
; NumSGPRsForWavesPerEU: 23
; NumVGPRsForWavesPerEU: 10
; Occupancy: 10
; WaveLimiterHint : 0
; COMPUTE_PGM_RSRC2:SCRATCH_EN: 0
; COMPUTE_PGM_RSRC2:USER_SGPR: 6
; COMPUTE_PGM_RSRC2:TRAP_HANDLER: 0
; COMPUTE_PGM_RSRC2:TGID_X_EN: 1
; COMPUTE_PGM_RSRC2:TGID_Y_EN: 0
; COMPUTE_PGM_RSRC2:TGID_Z_EN: 0
; COMPUTE_PGM_RSRC2:TIDIG_COMP_CNT: 0
	.section	.text._ZN9rocsparseL14csr2coo_kernelILj256ELj32EilEEvT2_PKT1_S4_PS1_21rocsparse_index_base_,"axG",@progbits,_ZN9rocsparseL14csr2coo_kernelILj256ELj32EilEEvT2_PKT1_S4_PS1_21rocsparse_index_base_,comdat
	.globl	_ZN9rocsparseL14csr2coo_kernelILj256ELj32EilEEvT2_PKT1_S4_PS1_21rocsparse_index_base_ ; -- Begin function _ZN9rocsparseL14csr2coo_kernelILj256ELj32EilEEvT2_PKT1_S4_PS1_21rocsparse_index_base_
	.p2align	8
	.type	_ZN9rocsparseL14csr2coo_kernelILj256ELj32EilEEvT2_PKT1_S4_PS1_21rocsparse_index_base_,@function
_ZN9rocsparseL14csr2coo_kernelILj256ELj32EilEEvT2_PKT1_S4_PS1_21rocsparse_index_base_: ; @_ZN9rocsparseL14csr2coo_kernelILj256ELj32EilEEvT2_PKT1_S4_PS1_21rocsparse_index_base_
; %bb.0:
	s_load_dwordx8 s[8:15], s[4:5], 0x0
	s_load_dword s18, s[4:5], 0x20
	v_lshrrev_b32_e32 v7, 5, v0
	v_mov_b32_e32 v1, 1
	v_mov_b32_e32 v2, 0
	s_lshl_b32 s2, s6, 3
	ds_write_b32 v2, v1 offset:32
	v_or_b32_e32 v1, s2, v7
	s_waitcnt lgkmcnt(0)
	v_cmp_gt_i64_e32 vcc, s[8:9], v[1:2]
	v_lshlrev_b64 v[3:4], 2, v[1:2]
	v_mov_b32_e32 v5, v2
	s_barrier
	s_and_saveexec_b64 s[4:5], vcc
	s_cbranch_execz .LBB20_2
; %bb.1:
	v_mov_b32_e32 v6, s11
	v_add_co_u32_e64 v5, s[0:1], s10, v3
	v_addc_co_u32_e64 v6, s[0:1], v6, v4, s[0:1]
	global_load_dword v5, v[5:6], off
	s_waitcnt vmcnt(0)
	v_subrev_u32_e32 v5, s18, v5
.LBB20_2:
	s_or_b64 exec, exec, s[4:5]
	s_and_saveexec_b64 s[0:1], vcc
	s_cbranch_execz .LBB20_4
; %bb.3:
	v_mov_b32_e32 v6, s13
	v_add_co_u32_e32 v2, vcc, s12, v3
	v_addc_co_u32_e32 v3, vcc, v6, v4, vcc
	global_load_dword v2, v[2:3], off
	s_waitcnt vmcnt(0)
	v_subrev_u32_e32 v2, s18, v2
.LBB20_4:
	s_or_b64 exec, exec, s[0:1]
	v_sub_u32_e32 v3, v2, v5
	s_movk_i32 s0, 0x101
	v_cmp_gt_u32_e32 vcc, s0, v3
	s_movk_i32 s0, 0x100
	v_cmp_lt_u32_e64 s[0:1], s0, v3
	s_and_saveexec_b64 s[4:5], s[0:1]
	s_xor_b64 s[0:1], exec, s[4:5]
; %bb.5:
	v_mov_b32_e32 v1, 0
	ds_write_b32 v1, v1 offset:32
                                        ; implicit-def: $vgpr5
                                        ; implicit-def: $vgpr2
; %bb.6:
	s_andn2_saveexec_b64 s[4:5], s[0:1]
	s_cbranch_execz .LBB20_11
; %bb.7:
	v_and_b32_e32 v3, 31, v0
	v_add_u32_e32 v3, v5, v3
	v_cmp_lt_i32_e64 s[0:1], v3, v2
	s_and_saveexec_b64 s[6:7], s[0:1]
	s_cbranch_execz .LBB20_10
; %bb.8:
	v_add_co_u32_e64 v5, s[0:1], s18, v1
	v_addc_co_u32_e64 v6, s[0:1], 0, 0, s[0:1]
	s_mov_b64 s[16:17], 0
	v_mov_b32_e32 v1, s15
.LBB20_9:                               ; =>This Inner Loop Header: Depth=1
	v_ashrrev_i32_e32 v4, 31, v3
	v_lshlrev_b64 v[8:9], 3, v[3:4]
	v_add_u32_e32 v3, 32, v3
	v_add_co_u32_e64 v8, s[0:1], s14, v8
	v_addc_co_u32_e64 v9, s[0:1], v1, v9, s[0:1]
	v_cmp_ge_i32_e64 s[0:1], v3, v2
	s_or_b64 s[16:17], s[0:1], s[16:17]
	global_store_dwordx2 v[8:9], v[5:6], off
	s_andn2_b64 exec, exec, s[16:17]
	s_cbranch_execnz .LBB20_9
.LBB20_10:
	s_or_b64 exec, exec, s[6:7]
.LBB20_11:
	s_or_b64 exec, exec, s[4:5]
	v_cndmask_b32_e64 v1, 0, 1, vcc
	v_lshlrev_b32_e32 v2, 2, v7
	ds_write_b32 v2, v1
	v_mov_b32_e32 v1, 0
	s_waitcnt vmcnt(0) lgkmcnt(0)
	s_barrier
	ds_read_b32 v2, v1 offset:32
	s_waitcnt lgkmcnt(0)
	v_cmp_ne_u32_e32 vcc, 0, v2
	s_cbranch_vccnz .LBB20_83
; %bb.12:
	ds_read_b32 v1, v1
	s_mov_b32 s3, 0
	s_waitcnt lgkmcnt(0)
	v_cmp_ne_u32_e32 vcc, 0, v1
	s_cbranch_vccnz .LBB20_21
; %bb.13:
	v_mov_b32_e32 v1, s2
	v_mov_b32_e32 v2, s3
	v_cmp_le_i64_e32 vcc, s[8:9], v[1:2]
	v_cmp_gt_i64_e64 s[0:1], s[8:9], v[1:2]
	s_mov_b32 s6, 0
	s_mov_b32 s4, 0
	s_cbranch_vccz .LBB20_16
; %bb.14:
	s_andn2_b64 vcc, exec, s[0:1]
	s_cbranch_vccz .LBB20_17
.LBB20_15:
	v_add_u32_e32 v1, s4, v0
	v_cmp_gt_i32_e32 vcc, s6, v1
	s_and_saveexec_b64 s[0:1], vcc
	s_cbranch_execnz .LBB20_18
	s_branch .LBB20_20
.LBB20_16:
	s_lshl_b64 s[4:5], s[2:3], 2
	s_add_u32 s4, s10, s4
	s_addc_u32 s5, s11, s5
	s_load_dword s4, s[4:5], 0x0
	s_waitcnt lgkmcnt(0)
	s_sub_i32 s4, s4, s18
	s_andn2_b64 vcc, exec, s[0:1]
	s_cbranch_vccnz .LBB20_15
.LBB20_17:
	s_lshl_b64 s[0:1], s[2:3], 2
	s_add_u32 s0, s12, s0
	s_addc_u32 s1, s13, s1
	s_load_dword s0, s[0:1], 0x0
	s_waitcnt lgkmcnt(0)
	s_sub_i32 s6, s0, s18
	v_add_u32_e32 v1, s4, v0
	v_cmp_gt_i32_e32 vcc, s6, v1
	s_and_saveexec_b64 s[0:1], vcc
	s_cbranch_execz .LBB20_20
.LBB20_18:
	s_add_u32 s16, s2, s18
	s_addc_u32 s17, 0, 0
	v_mov_b32_e32 v3, s16
	s_mov_b64 s[4:5], 0
	v_mov_b32_e32 v5, s15
	v_mov_b32_e32 v4, s17
.LBB20_19:                              ; =>This Inner Loop Header: Depth=1
	v_ashrrev_i32_e32 v2, 31, v1
	v_lshlrev_b64 v[6:7], 3, v[1:2]
	v_add_u32_e32 v1, 0x100, v1
	v_add_co_u32_e32 v6, vcc, s14, v6
	v_addc_co_u32_e32 v7, vcc, v5, v7, vcc
	v_cmp_le_i32_e32 vcc, s6, v1
	s_or_b64 s[4:5], vcc, s[4:5]
	global_store_dwordx2 v[6:7], v[3:4], off
	s_andn2_b64 exec, exec, s[4:5]
	s_cbranch_execnz .LBB20_19
.LBB20_20:
	s_or_b64 exec, exec, s[0:1]
.LBB20_21:
	v_mov_b32_e32 v5, 0
	ds_read_b32 v1, v5 offset:4
	s_waitcnt lgkmcnt(0)
	v_cmp_ne_u32_e32 vcc, 0, v1
	s_cbranch_vccz .LBB20_23
; %bb.22:
	ds_read_b32 v1, v5 offset:8
	s_waitcnt lgkmcnt(0)
	v_cmp_ne_u32_e32 vcc, 0, v1
	s_cbranch_vccnz .LBB20_39
	s_branch .LBB20_31
.LBB20_23:
	s_or_b32 s4, s2, 1
	s_mov_b32 s5, s3
	v_mov_b32_e32 v1, s4
	v_mov_b32_e32 v2, s5
	v_cmp_le_i64_e32 vcc, s[8:9], v[1:2]
	v_cmp_gt_i64_e64 s[0:1], s[8:9], v[1:2]
	s_cbranch_vccz .LBB20_26
; %bb.24:
	s_andn2_b64 vcc, exec, s[0:1]
	s_mov_b32 s6, 0
	s_cbranch_vccz .LBB20_27
.LBB20_25:
	v_add_u32_e32 v1, s5, v0
	v_cmp_gt_i32_e32 vcc, s6, v1
	s_and_saveexec_b64 s[0:1], vcc
	s_cbranch_execnz .LBB20_28
	s_branch .LBB20_30
.LBB20_26:
	s_lshl_b64 s[6:7], s[2:3], 2
	s_add_u32 s6, s10, s6
	s_addc_u32 s7, s11, s7
	s_load_dword s5, s[6:7], 0x4
	s_waitcnt lgkmcnt(0)
	s_sub_i32 s5, s5, s18
	s_andn2_b64 vcc, exec, s[0:1]
	s_mov_b32 s6, 0
	s_cbranch_vccnz .LBB20_25
.LBB20_27:
	s_lshl_b64 s[0:1], s[2:3], 2
	s_add_u32 s0, s12, s0
	s_addc_u32 s1, s13, s1
	s_load_dword s0, s[0:1], 0x4
	s_waitcnt lgkmcnt(0)
	s_sub_i32 s6, s0, s18
	v_add_u32_e32 v1, s5, v0
	v_cmp_gt_i32_e32 vcc, s6, v1
	s_and_saveexec_b64 s[0:1], vcc
	s_cbranch_execz .LBB20_30
.LBB20_28:
	s_add_u32 s16, s4, s18
	s_addc_u32 s17, 0, 0
	v_mov_b32_e32 v3, s16
	s_mov_b64 s[4:5], 0
	v_mov_b32_e32 v6, s15
	v_mov_b32_e32 v4, s17
.LBB20_29:                              ; =>This Inner Loop Header: Depth=1
	v_ashrrev_i32_e32 v2, 31, v1
	v_lshlrev_b64 v[7:8], 3, v[1:2]
	v_add_u32_e32 v1, 0x100, v1
	v_add_co_u32_e32 v7, vcc, s14, v7
	v_addc_co_u32_e32 v8, vcc, v6, v8, vcc
	v_cmp_le_i32_e32 vcc, s6, v1
	s_or_b64 s[4:5], vcc, s[4:5]
	global_store_dwordx2 v[7:8], v[3:4], off
	s_andn2_b64 exec, exec, s[4:5]
	s_cbranch_execnz .LBB20_29
.LBB20_30:
	s_or_b64 exec, exec, s[0:1]
	ds_read_b32 v1, v5 offset:8
	s_waitcnt lgkmcnt(0)
	v_cmp_ne_u32_e32 vcc, 0, v1
	s_cbranch_vccnz .LBB20_39
.LBB20_31:
	s_or_b32 s4, s2, 2
	s_mov_b32 s5, 0
	v_mov_b32_e32 v1, s4
	v_mov_b32_e32 v2, s5
	v_cmp_le_i64_e32 vcc, s[8:9], v[1:2]
	v_cmp_gt_i64_e64 s[0:1], s[8:9], v[1:2]
	s_mov_b32 s6, s5
	s_cbranch_vccz .LBB20_34
; %bb.32:
	s_andn2_b64 vcc, exec, s[0:1]
	s_cbranch_vccz .LBB20_35
.LBB20_33:
	v_add_u32_e32 v1, s6, v0
	v_cmp_gt_i32_e32 vcc, s5, v1
	s_and_saveexec_b64 s[0:1], vcc
	s_cbranch_execnz .LBB20_36
	s_branch .LBB20_38
.LBB20_34:
	s_lshl_b64 s[6:7], s[2:3], 2
	s_add_u32 s6, s10, s6
	s_addc_u32 s7, s11, s7
	s_load_dword s6, s[6:7], 0x8
	s_waitcnt lgkmcnt(0)
	s_sub_i32 s6, s6, s18
	s_andn2_b64 vcc, exec, s[0:1]
	s_cbranch_vccnz .LBB20_33
.LBB20_35:
	s_lshl_b64 s[0:1], s[2:3], 2
	s_add_u32 s0, s12, s0
	s_addc_u32 s1, s13, s1
	s_load_dword s0, s[0:1], 0x8
	s_waitcnt lgkmcnt(0)
	s_sub_i32 s5, s0, s18
	v_add_u32_e32 v1, s6, v0
	v_cmp_gt_i32_e32 vcc, s5, v1
	s_and_saveexec_b64 s[0:1], vcc
	s_cbranch_execz .LBB20_38
.LBB20_36:
	s_add_u32 s16, s4, s18
	s_addc_u32 s17, 0, 0
	v_mov_b32_e32 v3, s16
	s_mov_b64 s[6:7], 0
	v_mov_b32_e32 v5, s15
	v_mov_b32_e32 v4, s17
.LBB20_37:                              ; =>This Inner Loop Header: Depth=1
	v_ashrrev_i32_e32 v2, 31, v1
	v_lshlrev_b64 v[6:7], 3, v[1:2]
	v_add_u32_e32 v1, 0x100, v1
	v_add_co_u32_e32 v6, vcc, s14, v6
	v_addc_co_u32_e32 v7, vcc, v5, v7, vcc
	v_cmp_le_i32_e32 vcc, s5, v1
	s_or_b64 s[6:7], vcc, s[6:7]
	global_store_dwordx2 v[6:7], v[3:4], off
	s_andn2_b64 exec, exec, s[6:7]
	s_cbranch_execnz .LBB20_37
.LBB20_38:
	s_or_b64 exec, exec, s[0:1]
.LBB20_39:
	v_mov_b32_e32 v5, 0
	ds_read_b32 v1, v5 offset:12
	s_mov_b32 s5, 0
	s_waitcnt lgkmcnt(0)
	v_cmp_ne_u32_e32 vcc, 0, v1
	s_cbranch_vccz .LBB20_41
; %bb.40:
	ds_read_b32 v1, v5 offset:16
	s_waitcnt lgkmcnt(0)
	v_cmp_ne_u32_e32 vcc, 0, v1
	s_cbranch_vccnz .LBB20_57
	s_branch .LBB20_49
.LBB20_41:
	s_or_b32 s4, s2, 3
	v_mov_b32_e32 v1, s4
	v_mov_b32_e32 v2, s5
	v_cmp_le_i64_e32 vcc, s[8:9], v[1:2]
	v_cmp_gt_i64_e64 s[0:1], s[8:9], v[1:2]
	s_cbranch_vccz .LBB20_44
; %bb.42:
	s_andn2_b64 vcc, exec, s[0:1]
	s_mov_b32 s6, 0
	s_cbranch_vccz .LBB20_45
.LBB20_43:
	v_add_u32_e32 v1, s5, v0
	v_cmp_gt_i32_e32 vcc, s6, v1
	s_and_saveexec_b64 s[0:1], vcc
	s_cbranch_execnz .LBB20_46
	s_branch .LBB20_48
.LBB20_44:
	s_lshl_b64 s[6:7], s[2:3], 2
	s_add_u32 s6, s10, s6
	s_addc_u32 s7, s11, s7
	s_load_dword s5, s[6:7], 0xc
	s_waitcnt lgkmcnt(0)
	s_sub_i32 s5, s5, s18
	s_andn2_b64 vcc, exec, s[0:1]
	s_mov_b32 s6, 0
	s_cbranch_vccnz .LBB20_43
.LBB20_45:
	s_lshl_b64 s[0:1], s[2:3], 2
	s_add_u32 s0, s12, s0
	s_addc_u32 s1, s13, s1
	s_load_dword s0, s[0:1], 0xc
	s_waitcnt lgkmcnt(0)
	s_sub_i32 s6, s0, s18
	v_add_u32_e32 v1, s5, v0
	v_cmp_gt_i32_e32 vcc, s6, v1
	s_and_saveexec_b64 s[0:1], vcc
	s_cbranch_execz .LBB20_48
.LBB20_46:
	s_add_u32 s16, s4, s18
	s_addc_u32 s17, 0, 0
	v_mov_b32_e32 v3, s16
	s_mov_b64 s[4:5], 0
	v_mov_b32_e32 v6, s15
	v_mov_b32_e32 v4, s17
.LBB20_47:                              ; =>This Inner Loop Header: Depth=1
	v_ashrrev_i32_e32 v2, 31, v1
	v_lshlrev_b64 v[7:8], 3, v[1:2]
	v_add_u32_e32 v1, 0x100, v1
	v_add_co_u32_e32 v7, vcc, s14, v7
	v_addc_co_u32_e32 v8, vcc, v6, v8, vcc
	v_cmp_le_i32_e32 vcc, s6, v1
	s_or_b64 s[4:5], vcc, s[4:5]
	global_store_dwordx2 v[7:8], v[3:4], off
	s_andn2_b64 exec, exec, s[4:5]
	s_cbranch_execnz .LBB20_47
.LBB20_48:
	s_or_b64 exec, exec, s[0:1]
	ds_read_b32 v1, v5 offset:16
	s_waitcnt lgkmcnt(0)
	v_cmp_ne_u32_e32 vcc, 0, v1
	s_cbranch_vccnz .LBB20_57
.LBB20_49:
	s_or_b32 s4, s2, 4
	s_mov_b32 s5, 0
	v_mov_b32_e32 v1, s4
	v_mov_b32_e32 v2, s5
	v_cmp_le_i64_e32 vcc, s[8:9], v[1:2]
	v_cmp_gt_i64_e64 s[0:1], s[8:9], v[1:2]
	s_mov_b32 s6, s5
	s_cbranch_vccz .LBB20_52
; %bb.50:
	s_andn2_b64 vcc, exec, s[0:1]
	s_cbranch_vccz .LBB20_53
.LBB20_51:
	v_add_u32_e32 v1, s6, v0
	v_cmp_gt_i32_e32 vcc, s5, v1
	s_and_saveexec_b64 s[0:1], vcc
	s_cbranch_execnz .LBB20_54
	s_branch .LBB20_56
.LBB20_52:
	s_lshl_b64 s[6:7], s[2:3], 2
	s_add_u32 s6, s10, s6
	s_addc_u32 s7, s11, s7
	s_load_dword s6, s[6:7], 0x10
	s_waitcnt lgkmcnt(0)
	s_sub_i32 s6, s6, s18
	s_andn2_b64 vcc, exec, s[0:1]
	s_cbranch_vccnz .LBB20_51
.LBB20_53:
	s_lshl_b64 s[0:1], s[2:3], 2
	s_add_u32 s0, s12, s0
	s_addc_u32 s1, s13, s1
	s_load_dword s0, s[0:1], 0x10
	s_waitcnt lgkmcnt(0)
	s_sub_i32 s5, s0, s18
	v_add_u32_e32 v1, s6, v0
	v_cmp_gt_i32_e32 vcc, s5, v1
	s_and_saveexec_b64 s[0:1], vcc
	s_cbranch_execz .LBB20_56
.LBB20_54:
	s_add_u32 s16, s4, s18
	s_addc_u32 s17, 0, 0
	v_mov_b32_e32 v3, s16
	s_mov_b64 s[6:7], 0
	v_mov_b32_e32 v5, s15
	v_mov_b32_e32 v4, s17
.LBB20_55:                              ; =>This Inner Loop Header: Depth=1
	v_ashrrev_i32_e32 v2, 31, v1
	v_lshlrev_b64 v[6:7], 3, v[1:2]
	v_add_u32_e32 v1, 0x100, v1
	v_add_co_u32_e32 v6, vcc, s14, v6
	v_addc_co_u32_e32 v7, vcc, v5, v7, vcc
	v_cmp_le_i32_e32 vcc, s5, v1
	s_or_b64 s[6:7], vcc, s[6:7]
	global_store_dwordx2 v[6:7], v[3:4], off
	s_andn2_b64 exec, exec, s[6:7]
	s_cbranch_execnz .LBB20_55
.LBB20_56:
	s_or_b64 exec, exec, s[0:1]
.LBB20_57:
	v_mov_b32_e32 v5, 0
	ds_read_b32 v1, v5 offset:20
	s_mov_b32 s5, 0
	s_waitcnt lgkmcnt(0)
	v_cmp_ne_u32_e32 vcc, 0, v1
	s_cbranch_vccz .LBB20_59
; %bb.58:
	ds_read_b32 v1, v5 offset:24
	s_waitcnt lgkmcnt(0)
	v_cmp_ne_u32_e32 vcc, 0, v1
	s_cbranch_vccnz .LBB20_75
	s_branch .LBB20_67
.LBB20_59:
	s_or_b32 s4, s2, 5
	v_mov_b32_e32 v1, s4
	v_mov_b32_e32 v2, s5
	v_cmp_le_i64_e32 vcc, s[8:9], v[1:2]
	v_cmp_gt_i64_e64 s[0:1], s[8:9], v[1:2]
	s_cbranch_vccz .LBB20_62
; %bb.60:
	s_andn2_b64 vcc, exec, s[0:1]
	s_mov_b32 s6, 0
	s_cbranch_vccz .LBB20_63
.LBB20_61:
	v_add_u32_e32 v1, s5, v0
	v_cmp_gt_i32_e32 vcc, s6, v1
	s_and_saveexec_b64 s[0:1], vcc
	s_cbranch_execnz .LBB20_64
	s_branch .LBB20_66
.LBB20_62:
	s_lshl_b64 s[6:7], s[2:3], 2
	s_add_u32 s6, s10, s6
	s_addc_u32 s7, s11, s7
	s_load_dword s5, s[6:7], 0x14
	s_waitcnt lgkmcnt(0)
	s_sub_i32 s5, s5, s18
	s_andn2_b64 vcc, exec, s[0:1]
	s_mov_b32 s6, 0
	s_cbranch_vccnz .LBB20_61
.LBB20_63:
	s_lshl_b64 s[0:1], s[2:3], 2
	s_add_u32 s0, s12, s0
	s_addc_u32 s1, s13, s1
	s_load_dword s0, s[0:1], 0x14
	s_waitcnt lgkmcnt(0)
	s_sub_i32 s6, s0, s18
	v_add_u32_e32 v1, s5, v0
	v_cmp_gt_i32_e32 vcc, s6, v1
	s_and_saveexec_b64 s[0:1], vcc
	s_cbranch_execz .LBB20_66
.LBB20_64:
	s_add_u32 s16, s4, s18
	s_addc_u32 s17, 0, 0
	v_mov_b32_e32 v3, s16
	s_mov_b64 s[4:5], 0
	v_mov_b32_e32 v6, s15
	v_mov_b32_e32 v4, s17
.LBB20_65:                              ; =>This Inner Loop Header: Depth=1
	v_ashrrev_i32_e32 v2, 31, v1
	v_lshlrev_b64 v[7:8], 3, v[1:2]
	v_add_u32_e32 v1, 0x100, v1
	v_add_co_u32_e32 v7, vcc, s14, v7
	v_addc_co_u32_e32 v8, vcc, v6, v8, vcc
	v_cmp_le_i32_e32 vcc, s6, v1
	s_or_b64 s[4:5], vcc, s[4:5]
	global_store_dwordx2 v[7:8], v[3:4], off
	s_andn2_b64 exec, exec, s[4:5]
	s_cbranch_execnz .LBB20_65
.LBB20_66:
	s_or_b64 exec, exec, s[0:1]
	ds_read_b32 v1, v5 offset:24
	s_waitcnt lgkmcnt(0)
	v_cmp_ne_u32_e32 vcc, 0, v1
	s_cbranch_vccnz .LBB20_75
.LBB20_67:
	s_or_b32 s4, s2, 6
	s_mov_b32 s5, 0
	v_mov_b32_e32 v1, s4
	v_mov_b32_e32 v2, s5
	v_cmp_le_i64_e32 vcc, s[8:9], v[1:2]
	v_cmp_gt_i64_e64 s[0:1], s[8:9], v[1:2]
	s_mov_b32 s6, s5
	s_cbranch_vccz .LBB20_70
; %bb.68:
	s_andn2_b64 vcc, exec, s[0:1]
	s_cbranch_vccz .LBB20_71
.LBB20_69:
	v_add_u32_e32 v1, s6, v0
	v_cmp_gt_i32_e32 vcc, s5, v1
	s_and_saveexec_b64 s[0:1], vcc
	s_cbranch_execnz .LBB20_72
	s_branch .LBB20_74
.LBB20_70:
	s_lshl_b64 s[6:7], s[2:3], 2
	s_add_u32 s6, s10, s6
	s_addc_u32 s7, s11, s7
	s_load_dword s6, s[6:7], 0x18
	s_waitcnt lgkmcnt(0)
	s_sub_i32 s6, s6, s18
	s_andn2_b64 vcc, exec, s[0:1]
	s_cbranch_vccnz .LBB20_69
.LBB20_71:
	s_lshl_b64 s[0:1], s[2:3], 2
	s_add_u32 s0, s12, s0
	s_addc_u32 s1, s13, s1
	s_load_dword s0, s[0:1], 0x18
	s_waitcnt lgkmcnt(0)
	s_sub_i32 s5, s0, s18
	v_add_u32_e32 v1, s6, v0
	v_cmp_gt_i32_e32 vcc, s5, v1
	s_and_saveexec_b64 s[0:1], vcc
	s_cbranch_execz .LBB20_74
.LBB20_72:
	s_add_u32 s16, s4, s18
	s_addc_u32 s17, 0, 0
	v_mov_b32_e32 v3, s16
	s_mov_b64 s[6:7], 0
	v_mov_b32_e32 v5, s15
	v_mov_b32_e32 v4, s17
.LBB20_73:                              ; =>This Inner Loop Header: Depth=1
	v_ashrrev_i32_e32 v2, 31, v1
	v_lshlrev_b64 v[6:7], 3, v[1:2]
	v_add_u32_e32 v1, 0x100, v1
	v_add_co_u32_e32 v6, vcc, s14, v6
	v_addc_co_u32_e32 v7, vcc, v5, v7, vcc
	v_cmp_le_i32_e32 vcc, s5, v1
	s_or_b64 s[6:7], vcc, s[6:7]
	global_store_dwordx2 v[6:7], v[3:4], off
	s_andn2_b64 exec, exec, s[6:7]
	s_cbranch_execnz .LBB20_73
.LBB20_74:
	s_or_b64 exec, exec, s[0:1]
.LBB20_75:
	v_mov_b32_e32 v1, 0
	ds_read_b32 v1, v1 offset:28
	s_mov_b32 s5, 0
	s_waitcnt lgkmcnt(0)
	v_cmp_ne_u32_e32 vcc, 0, v1
	s_cbranch_vccnz .LBB20_83
; %bb.76:
	s_or_b32 s4, s2, 7
	v_mov_b32_e32 v1, s4
	v_mov_b32_e32 v2, s5
	v_cmp_le_i64_e32 vcc, s[8:9], v[1:2]
	v_cmp_gt_i64_e64 s[0:1], s[8:9], v[1:2]
	s_cbranch_vccz .LBB20_79
; %bb.77:
	s_andn2_b64 vcc, exec, s[0:1]
	s_mov_b32 s6, 0
	s_cbranch_vccz .LBB20_80
.LBB20_78:
	v_add_u32_e32 v0, s5, v0
	v_cmp_gt_i32_e32 vcc, s6, v0
	s_and_saveexec_b64 s[0:1], vcc
	s_cbranch_execnz .LBB20_81
	s_branch .LBB20_83
.LBB20_79:
	s_lshl_b64 s[6:7], s[2:3], 2
	s_add_u32 s6, s10, s6
	s_addc_u32 s7, s11, s7
	s_load_dword s5, s[6:7], 0x1c
	s_waitcnt lgkmcnt(0)
	s_sub_i32 s5, s5, s18
	s_andn2_b64 vcc, exec, s[0:1]
	s_mov_b32 s6, 0
	s_cbranch_vccnz .LBB20_78
.LBB20_80:
	s_lshl_b64 s[0:1], s[2:3], 2
	s_add_u32 s0, s12, s0
	s_addc_u32 s1, s13, s1
	s_load_dword s0, s[0:1], 0x1c
	s_waitcnt lgkmcnt(0)
	s_sub_i32 s6, s0, s18
	v_add_u32_e32 v0, s5, v0
	v_cmp_gt_i32_e32 vcc, s6, v0
	s_and_saveexec_b64 s[0:1], vcc
	s_cbranch_execz .LBB20_83
.LBB20_81:
	s_add_u32 s2, s4, s18
	s_addc_u32 s3, 0, 0
	v_mov_b32_e32 v2, s2
	s_mov_b64 s[0:1], 0
	v_mov_b32_e32 v4, s15
	v_mov_b32_e32 v3, s3
.LBB20_82:                              ; =>This Inner Loop Header: Depth=1
	v_ashrrev_i32_e32 v1, 31, v0
	v_lshlrev_b64 v[5:6], 3, v[0:1]
	v_add_u32_e32 v0, 0x100, v0
	v_add_co_u32_e32 v5, vcc, s14, v5
	v_addc_co_u32_e32 v6, vcc, v4, v6, vcc
	v_cmp_le_i32_e32 vcc, s6, v0
	s_or_b64 s[0:1], vcc, s[0:1]
	global_store_dwordx2 v[5:6], v[2:3], off
	s_andn2_b64 exec, exec, s[0:1]
	s_cbranch_execnz .LBB20_82
.LBB20_83:
	s_endpgm
	.section	.rodata,"a",@progbits
	.p2align	6, 0x0
	.amdhsa_kernel _ZN9rocsparseL14csr2coo_kernelILj256ELj32EilEEvT2_PKT1_S4_PS1_21rocsparse_index_base_
		.amdhsa_group_segment_fixed_size 36
		.amdhsa_private_segment_fixed_size 0
		.amdhsa_kernarg_size 36
		.amdhsa_user_sgpr_count 6
		.amdhsa_user_sgpr_private_segment_buffer 1
		.amdhsa_user_sgpr_dispatch_ptr 0
		.amdhsa_user_sgpr_queue_ptr 0
		.amdhsa_user_sgpr_kernarg_segment_ptr 1
		.amdhsa_user_sgpr_dispatch_id 0
		.amdhsa_user_sgpr_flat_scratch_init 0
		.amdhsa_user_sgpr_private_segment_size 0
		.amdhsa_uses_dynamic_stack 0
		.amdhsa_system_sgpr_private_segment_wavefront_offset 0
		.amdhsa_system_sgpr_workgroup_id_x 1
		.amdhsa_system_sgpr_workgroup_id_y 0
		.amdhsa_system_sgpr_workgroup_id_z 0
		.amdhsa_system_sgpr_workgroup_info 0
		.amdhsa_system_vgpr_workitem_id 0
		.amdhsa_next_free_vgpr 10
		.amdhsa_next_free_sgpr 19
		.amdhsa_reserve_vcc 1
		.amdhsa_reserve_flat_scratch 0
		.amdhsa_float_round_mode_32 0
		.amdhsa_float_round_mode_16_64 0
		.amdhsa_float_denorm_mode_32 3
		.amdhsa_float_denorm_mode_16_64 3
		.amdhsa_dx10_clamp 1
		.amdhsa_ieee_mode 1
		.amdhsa_fp16_overflow 0
		.amdhsa_exception_fp_ieee_invalid_op 0
		.amdhsa_exception_fp_denorm_src 0
		.amdhsa_exception_fp_ieee_div_zero 0
		.amdhsa_exception_fp_ieee_overflow 0
		.amdhsa_exception_fp_ieee_underflow 0
		.amdhsa_exception_fp_ieee_inexact 0
		.amdhsa_exception_int_div_zero 0
	.end_amdhsa_kernel
	.section	.text._ZN9rocsparseL14csr2coo_kernelILj256ELj32EilEEvT2_PKT1_S4_PS1_21rocsparse_index_base_,"axG",@progbits,_ZN9rocsparseL14csr2coo_kernelILj256ELj32EilEEvT2_PKT1_S4_PS1_21rocsparse_index_base_,comdat
.Lfunc_end20:
	.size	_ZN9rocsparseL14csr2coo_kernelILj256ELj32EilEEvT2_PKT1_S4_PS1_21rocsparse_index_base_, .Lfunc_end20-_ZN9rocsparseL14csr2coo_kernelILj256ELj32EilEEvT2_PKT1_S4_PS1_21rocsparse_index_base_
                                        ; -- End function
	.set _ZN9rocsparseL14csr2coo_kernelILj256ELj32EilEEvT2_PKT1_S4_PS1_21rocsparse_index_base_.num_vgpr, 10
	.set _ZN9rocsparseL14csr2coo_kernelILj256ELj32EilEEvT2_PKT1_S4_PS1_21rocsparse_index_base_.num_agpr, 0
	.set _ZN9rocsparseL14csr2coo_kernelILj256ELj32EilEEvT2_PKT1_S4_PS1_21rocsparse_index_base_.numbered_sgpr, 19
	.set _ZN9rocsparseL14csr2coo_kernelILj256ELj32EilEEvT2_PKT1_S4_PS1_21rocsparse_index_base_.num_named_barrier, 0
	.set _ZN9rocsparseL14csr2coo_kernelILj256ELj32EilEEvT2_PKT1_S4_PS1_21rocsparse_index_base_.private_seg_size, 0
	.set _ZN9rocsparseL14csr2coo_kernelILj256ELj32EilEEvT2_PKT1_S4_PS1_21rocsparse_index_base_.uses_vcc, 1
	.set _ZN9rocsparseL14csr2coo_kernelILj256ELj32EilEEvT2_PKT1_S4_PS1_21rocsparse_index_base_.uses_flat_scratch, 0
	.set _ZN9rocsparseL14csr2coo_kernelILj256ELj32EilEEvT2_PKT1_S4_PS1_21rocsparse_index_base_.has_dyn_sized_stack, 0
	.set _ZN9rocsparseL14csr2coo_kernelILj256ELj32EilEEvT2_PKT1_S4_PS1_21rocsparse_index_base_.has_recursion, 0
	.set _ZN9rocsparseL14csr2coo_kernelILj256ELj32EilEEvT2_PKT1_S4_PS1_21rocsparse_index_base_.has_indirect_call, 0
	.section	.AMDGPU.csdata,"",@progbits
; Kernel info:
; codeLenInByte = 2432
; TotalNumSgprs: 23
; NumVgprs: 10
; ScratchSize: 0
; MemoryBound: 0
; FloatMode: 240
; IeeeMode: 1
; LDSByteSize: 36 bytes/workgroup (compile time only)
; SGPRBlocks: 2
; VGPRBlocks: 2
; NumSGPRsForWavesPerEU: 23
; NumVGPRsForWavesPerEU: 10
; Occupancy: 10
; WaveLimiterHint : 0
; COMPUTE_PGM_RSRC2:SCRATCH_EN: 0
; COMPUTE_PGM_RSRC2:USER_SGPR: 6
; COMPUTE_PGM_RSRC2:TRAP_HANDLER: 0
; COMPUTE_PGM_RSRC2:TGID_X_EN: 1
; COMPUTE_PGM_RSRC2:TGID_Y_EN: 0
; COMPUTE_PGM_RSRC2:TGID_Z_EN: 0
; COMPUTE_PGM_RSRC2:TIDIG_COMP_CNT: 0
	.section	.text._ZN9rocsparseL14csr2coo_kernelILj256ELj64EilEEvT2_PKT1_S4_PS1_21rocsparse_index_base_,"axG",@progbits,_ZN9rocsparseL14csr2coo_kernelILj256ELj64EilEEvT2_PKT1_S4_PS1_21rocsparse_index_base_,comdat
	.globl	_ZN9rocsparseL14csr2coo_kernelILj256ELj64EilEEvT2_PKT1_S4_PS1_21rocsparse_index_base_ ; -- Begin function _ZN9rocsparseL14csr2coo_kernelILj256ELj64EilEEvT2_PKT1_S4_PS1_21rocsparse_index_base_
	.p2align	8
	.type	_ZN9rocsparseL14csr2coo_kernelILj256ELj64EilEEvT2_PKT1_S4_PS1_21rocsparse_index_base_,@function
_ZN9rocsparseL14csr2coo_kernelILj256ELj64EilEEvT2_PKT1_S4_PS1_21rocsparse_index_base_: ; @_ZN9rocsparseL14csr2coo_kernelILj256ELj64EilEEvT2_PKT1_S4_PS1_21rocsparse_index_base_
; %bb.0:
	s_load_dwordx8 s[8:15], s[4:5], 0x0
	s_load_dword s18, s[4:5], 0x20
	v_lshrrev_b32_e32 v7, 6, v0
	v_mov_b32_e32 v1, 1
	v_mov_b32_e32 v2, 0
	s_lshl_b32 s2, s6, 2
	ds_write_b32 v2, v1 offset:16
	v_or_b32_e32 v1, s2, v7
	s_waitcnt lgkmcnt(0)
	v_cmp_gt_i64_e32 vcc, s[8:9], v[1:2]
	v_lshlrev_b64 v[3:4], 2, v[1:2]
	v_mov_b32_e32 v5, v2
	s_barrier
	s_and_saveexec_b64 s[4:5], vcc
	s_cbranch_execz .LBB21_2
; %bb.1:
	v_mov_b32_e32 v6, s11
	v_add_co_u32_e64 v5, s[0:1], s10, v3
	v_addc_co_u32_e64 v6, s[0:1], v6, v4, s[0:1]
	global_load_dword v5, v[5:6], off
	s_waitcnt vmcnt(0)
	v_subrev_u32_e32 v5, s18, v5
.LBB21_2:
	s_or_b64 exec, exec, s[4:5]
	s_and_saveexec_b64 s[0:1], vcc
	s_cbranch_execz .LBB21_4
; %bb.3:
	v_mov_b32_e32 v6, s13
	v_add_co_u32_e32 v2, vcc, s12, v3
	v_addc_co_u32_e32 v3, vcc, v6, v4, vcc
	global_load_dword v2, v[2:3], off
	s_waitcnt vmcnt(0)
	v_subrev_u32_e32 v2, s18, v2
.LBB21_4:
	s_or_b64 exec, exec, s[0:1]
	v_sub_u32_e32 v3, v2, v5
	s_movk_i32 s0, 0x201
	v_cmp_gt_u32_e32 vcc, s0, v3
	s_movk_i32 s0, 0x200
	v_cmp_lt_u32_e64 s[0:1], s0, v3
	s_and_saveexec_b64 s[4:5], s[0:1]
	s_xor_b64 s[0:1], exec, s[4:5]
; %bb.5:
	v_mov_b32_e32 v1, 0
	ds_write_b32 v1, v1 offset:16
                                        ; implicit-def: $vgpr5
                                        ; implicit-def: $vgpr2
; %bb.6:
	s_andn2_saveexec_b64 s[4:5], s[0:1]
	s_cbranch_execz .LBB21_11
; %bb.7:
	v_and_b32_e32 v3, 63, v0
	v_add_u32_e32 v3, v5, v3
	v_cmp_lt_i32_e64 s[0:1], v3, v2
	s_and_saveexec_b64 s[6:7], s[0:1]
	s_cbranch_execz .LBB21_10
; %bb.8:
	v_add_co_u32_e64 v5, s[0:1], s18, v1
	v_addc_co_u32_e64 v6, s[0:1], 0, 0, s[0:1]
	s_mov_b64 s[16:17], 0
	v_mov_b32_e32 v1, s15
.LBB21_9:                               ; =>This Inner Loop Header: Depth=1
	v_ashrrev_i32_e32 v4, 31, v3
	v_lshlrev_b64 v[8:9], 3, v[3:4]
	v_add_u32_e32 v3, 64, v3
	v_add_co_u32_e64 v8, s[0:1], s14, v8
	v_addc_co_u32_e64 v9, s[0:1], v1, v9, s[0:1]
	v_cmp_ge_i32_e64 s[0:1], v3, v2
	s_or_b64 s[16:17], s[0:1], s[16:17]
	global_store_dwordx2 v[8:9], v[5:6], off
	s_andn2_b64 exec, exec, s[16:17]
	s_cbranch_execnz .LBB21_9
.LBB21_10:
	s_or_b64 exec, exec, s[6:7]
.LBB21_11:
	s_or_b64 exec, exec, s[4:5]
	v_cndmask_b32_e64 v1, 0, 1, vcc
	v_lshlrev_b32_e32 v2, 2, v7
	ds_write_b32 v2, v1
	v_mov_b32_e32 v1, 0
	s_waitcnt vmcnt(0) lgkmcnt(0)
	s_barrier
	ds_read_b32 v2, v1 offset:16
	s_waitcnt lgkmcnt(0)
	v_cmp_ne_u32_e32 vcc, 0, v2
	s_cbranch_vccnz .LBB21_47
; %bb.12:
	ds_read_b32 v1, v1
	s_mov_b32 s3, 0
	s_waitcnt lgkmcnt(0)
	v_cmp_ne_u32_e32 vcc, 0, v1
	s_cbranch_vccnz .LBB21_21
; %bb.13:
	v_mov_b32_e32 v1, s2
	v_mov_b32_e32 v2, s3
	v_cmp_le_i64_e32 vcc, s[8:9], v[1:2]
	v_cmp_gt_i64_e64 s[0:1], s[8:9], v[1:2]
	s_mov_b32 s6, 0
	s_mov_b32 s4, 0
	s_cbranch_vccz .LBB21_16
; %bb.14:
	s_andn2_b64 vcc, exec, s[0:1]
	s_cbranch_vccz .LBB21_17
.LBB21_15:
	v_add_u32_e32 v1, s4, v0
	v_cmp_gt_i32_e32 vcc, s6, v1
	s_and_saveexec_b64 s[0:1], vcc
	s_cbranch_execnz .LBB21_18
	s_branch .LBB21_20
.LBB21_16:
	s_lshl_b64 s[4:5], s[2:3], 2
	s_add_u32 s4, s10, s4
	s_addc_u32 s5, s11, s5
	s_load_dword s4, s[4:5], 0x0
	s_waitcnt lgkmcnt(0)
	s_sub_i32 s4, s4, s18
	s_andn2_b64 vcc, exec, s[0:1]
	s_cbranch_vccnz .LBB21_15
.LBB21_17:
	s_lshl_b64 s[0:1], s[2:3], 2
	s_add_u32 s0, s12, s0
	s_addc_u32 s1, s13, s1
	s_load_dword s0, s[0:1], 0x0
	s_waitcnt lgkmcnt(0)
	s_sub_i32 s6, s0, s18
	v_add_u32_e32 v1, s4, v0
	v_cmp_gt_i32_e32 vcc, s6, v1
	s_and_saveexec_b64 s[0:1], vcc
	s_cbranch_execz .LBB21_20
.LBB21_18:
	s_add_u32 s16, s2, s18
	s_addc_u32 s17, 0, 0
	v_mov_b32_e32 v3, s16
	s_mov_b64 s[4:5], 0
	v_mov_b32_e32 v5, s15
	v_mov_b32_e32 v4, s17
.LBB21_19:                              ; =>This Inner Loop Header: Depth=1
	v_ashrrev_i32_e32 v2, 31, v1
	v_lshlrev_b64 v[6:7], 3, v[1:2]
	v_add_u32_e32 v1, 0x100, v1
	v_add_co_u32_e32 v6, vcc, s14, v6
	v_addc_co_u32_e32 v7, vcc, v5, v7, vcc
	v_cmp_le_i32_e32 vcc, s6, v1
	s_or_b64 s[4:5], vcc, s[4:5]
	global_store_dwordx2 v[6:7], v[3:4], off
	s_andn2_b64 exec, exec, s[4:5]
	s_cbranch_execnz .LBB21_19
.LBB21_20:
	s_or_b64 exec, exec, s[0:1]
.LBB21_21:
	v_mov_b32_e32 v5, 0
	ds_read_b32 v1, v5 offset:4
	s_waitcnt lgkmcnt(0)
	v_cmp_ne_u32_e32 vcc, 0, v1
	s_cbranch_vccz .LBB21_23
; %bb.22:
	ds_read_b32 v1, v5 offset:8
	s_waitcnt lgkmcnt(0)
	v_cmp_ne_u32_e32 vcc, 0, v1
	s_cbranch_vccnz .LBB21_39
	s_branch .LBB21_31
.LBB21_23:
	s_or_b32 s4, s2, 1
	s_mov_b32 s5, s3
	v_mov_b32_e32 v1, s4
	v_mov_b32_e32 v2, s5
	v_cmp_le_i64_e32 vcc, s[8:9], v[1:2]
	v_cmp_gt_i64_e64 s[0:1], s[8:9], v[1:2]
	s_cbranch_vccz .LBB21_26
; %bb.24:
	s_andn2_b64 vcc, exec, s[0:1]
	s_mov_b32 s6, 0
	s_cbranch_vccz .LBB21_27
.LBB21_25:
	v_add_u32_e32 v1, s5, v0
	v_cmp_gt_i32_e32 vcc, s6, v1
	s_and_saveexec_b64 s[0:1], vcc
	s_cbranch_execnz .LBB21_28
	s_branch .LBB21_30
.LBB21_26:
	s_lshl_b64 s[6:7], s[2:3], 2
	s_add_u32 s6, s10, s6
	s_addc_u32 s7, s11, s7
	s_load_dword s5, s[6:7], 0x4
	s_waitcnt lgkmcnt(0)
	s_sub_i32 s5, s5, s18
	s_andn2_b64 vcc, exec, s[0:1]
	s_mov_b32 s6, 0
	s_cbranch_vccnz .LBB21_25
.LBB21_27:
	s_lshl_b64 s[0:1], s[2:3], 2
	s_add_u32 s0, s12, s0
	s_addc_u32 s1, s13, s1
	s_load_dword s0, s[0:1], 0x4
	s_waitcnt lgkmcnt(0)
	s_sub_i32 s6, s0, s18
	v_add_u32_e32 v1, s5, v0
	v_cmp_gt_i32_e32 vcc, s6, v1
	s_and_saveexec_b64 s[0:1], vcc
	s_cbranch_execz .LBB21_30
.LBB21_28:
	s_add_u32 s16, s4, s18
	s_addc_u32 s17, 0, 0
	v_mov_b32_e32 v3, s16
	s_mov_b64 s[4:5], 0
	v_mov_b32_e32 v6, s15
	v_mov_b32_e32 v4, s17
.LBB21_29:                              ; =>This Inner Loop Header: Depth=1
	v_ashrrev_i32_e32 v2, 31, v1
	v_lshlrev_b64 v[7:8], 3, v[1:2]
	v_add_u32_e32 v1, 0x100, v1
	v_add_co_u32_e32 v7, vcc, s14, v7
	v_addc_co_u32_e32 v8, vcc, v6, v8, vcc
	v_cmp_le_i32_e32 vcc, s6, v1
	s_or_b64 s[4:5], vcc, s[4:5]
	global_store_dwordx2 v[7:8], v[3:4], off
	s_andn2_b64 exec, exec, s[4:5]
	s_cbranch_execnz .LBB21_29
.LBB21_30:
	s_or_b64 exec, exec, s[0:1]
	ds_read_b32 v1, v5 offset:8
	s_waitcnt lgkmcnt(0)
	v_cmp_ne_u32_e32 vcc, 0, v1
	s_cbranch_vccnz .LBB21_39
.LBB21_31:
	s_or_b32 s4, s2, 2
	s_mov_b32 s5, 0
	v_mov_b32_e32 v1, s4
	v_mov_b32_e32 v2, s5
	v_cmp_le_i64_e32 vcc, s[8:9], v[1:2]
	v_cmp_gt_i64_e64 s[0:1], s[8:9], v[1:2]
	s_mov_b32 s6, s5
	s_cbranch_vccz .LBB21_34
; %bb.32:
	s_andn2_b64 vcc, exec, s[0:1]
	s_cbranch_vccz .LBB21_35
.LBB21_33:
	v_add_u32_e32 v1, s6, v0
	v_cmp_gt_i32_e32 vcc, s5, v1
	s_and_saveexec_b64 s[0:1], vcc
	s_cbranch_execnz .LBB21_36
	s_branch .LBB21_38
.LBB21_34:
	s_lshl_b64 s[6:7], s[2:3], 2
	s_add_u32 s6, s10, s6
	s_addc_u32 s7, s11, s7
	s_load_dword s6, s[6:7], 0x8
	s_waitcnt lgkmcnt(0)
	s_sub_i32 s6, s6, s18
	s_andn2_b64 vcc, exec, s[0:1]
	s_cbranch_vccnz .LBB21_33
.LBB21_35:
	s_lshl_b64 s[0:1], s[2:3], 2
	s_add_u32 s0, s12, s0
	s_addc_u32 s1, s13, s1
	s_load_dword s0, s[0:1], 0x8
	s_waitcnt lgkmcnt(0)
	s_sub_i32 s5, s0, s18
	v_add_u32_e32 v1, s6, v0
	v_cmp_gt_i32_e32 vcc, s5, v1
	s_and_saveexec_b64 s[0:1], vcc
	s_cbranch_execz .LBB21_38
.LBB21_36:
	s_add_u32 s16, s4, s18
	s_addc_u32 s17, 0, 0
	v_mov_b32_e32 v3, s16
	s_mov_b64 s[6:7], 0
	v_mov_b32_e32 v5, s15
	v_mov_b32_e32 v4, s17
.LBB21_37:                              ; =>This Inner Loop Header: Depth=1
	v_ashrrev_i32_e32 v2, 31, v1
	v_lshlrev_b64 v[6:7], 3, v[1:2]
	v_add_u32_e32 v1, 0x100, v1
	v_add_co_u32_e32 v6, vcc, s14, v6
	v_addc_co_u32_e32 v7, vcc, v5, v7, vcc
	v_cmp_le_i32_e32 vcc, s5, v1
	s_or_b64 s[6:7], vcc, s[6:7]
	global_store_dwordx2 v[6:7], v[3:4], off
	s_andn2_b64 exec, exec, s[6:7]
	s_cbranch_execnz .LBB21_37
.LBB21_38:
	s_or_b64 exec, exec, s[0:1]
.LBB21_39:
	v_mov_b32_e32 v1, 0
	ds_read_b32 v1, v1 offset:12
	s_mov_b32 s5, 0
	s_waitcnt lgkmcnt(0)
	v_cmp_ne_u32_e32 vcc, 0, v1
	s_cbranch_vccnz .LBB21_47
; %bb.40:
	s_or_b32 s4, s2, 3
	v_mov_b32_e32 v1, s4
	v_mov_b32_e32 v2, s5
	v_cmp_le_i64_e32 vcc, s[8:9], v[1:2]
	v_cmp_gt_i64_e64 s[0:1], s[8:9], v[1:2]
	s_cbranch_vccz .LBB21_43
; %bb.41:
	s_andn2_b64 vcc, exec, s[0:1]
	s_mov_b32 s6, 0
	s_cbranch_vccz .LBB21_44
.LBB21_42:
	v_add_u32_e32 v0, s5, v0
	v_cmp_gt_i32_e32 vcc, s6, v0
	s_and_saveexec_b64 s[0:1], vcc
	s_cbranch_execnz .LBB21_45
	s_branch .LBB21_47
.LBB21_43:
	s_lshl_b64 s[6:7], s[2:3], 2
	s_add_u32 s6, s10, s6
	s_addc_u32 s7, s11, s7
	s_load_dword s5, s[6:7], 0xc
	s_waitcnt lgkmcnt(0)
	s_sub_i32 s5, s5, s18
	s_andn2_b64 vcc, exec, s[0:1]
	s_mov_b32 s6, 0
	s_cbranch_vccnz .LBB21_42
.LBB21_44:
	s_lshl_b64 s[0:1], s[2:3], 2
	s_add_u32 s0, s12, s0
	s_addc_u32 s1, s13, s1
	s_load_dword s0, s[0:1], 0xc
	s_waitcnt lgkmcnt(0)
	s_sub_i32 s6, s0, s18
	v_add_u32_e32 v0, s5, v0
	v_cmp_gt_i32_e32 vcc, s6, v0
	s_and_saveexec_b64 s[0:1], vcc
	s_cbranch_execz .LBB21_47
.LBB21_45:
	s_add_u32 s2, s4, s18
	s_addc_u32 s3, 0, 0
	v_mov_b32_e32 v2, s2
	s_mov_b64 s[0:1], 0
	v_mov_b32_e32 v4, s15
	v_mov_b32_e32 v3, s3
.LBB21_46:                              ; =>This Inner Loop Header: Depth=1
	v_ashrrev_i32_e32 v1, 31, v0
	v_lshlrev_b64 v[5:6], 3, v[0:1]
	v_add_u32_e32 v0, 0x100, v0
	v_add_co_u32_e32 v5, vcc, s14, v5
	v_addc_co_u32_e32 v6, vcc, v4, v6, vcc
	v_cmp_le_i32_e32 vcc, s6, v0
	s_or_b64 s[0:1], vcc, s[0:1]
	global_store_dwordx2 v[5:6], v[2:3], off
	s_andn2_b64 exec, exec, s[0:1]
	s_cbranch_execnz .LBB21_46
.LBB21_47:
	s_endpgm
	.section	.rodata,"a",@progbits
	.p2align	6, 0x0
	.amdhsa_kernel _ZN9rocsparseL14csr2coo_kernelILj256ELj64EilEEvT2_PKT1_S4_PS1_21rocsparse_index_base_
		.amdhsa_group_segment_fixed_size 20
		.amdhsa_private_segment_fixed_size 0
		.amdhsa_kernarg_size 36
		.amdhsa_user_sgpr_count 6
		.amdhsa_user_sgpr_private_segment_buffer 1
		.amdhsa_user_sgpr_dispatch_ptr 0
		.amdhsa_user_sgpr_queue_ptr 0
		.amdhsa_user_sgpr_kernarg_segment_ptr 1
		.amdhsa_user_sgpr_dispatch_id 0
		.amdhsa_user_sgpr_flat_scratch_init 0
		.amdhsa_user_sgpr_private_segment_size 0
		.amdhsa_uses_dynamic_stack 0
		.amdhsa_system_sgpr_private_segment_wavefront_offset 0
		.amdhsa_system_sgpr_workgroup_id_x 1
		.amdhsa_system_sgpr_workgroup_id_y 0
		.amdhsa_system_sgpr_workgroup_id_z 0
		.amdhsa_system_sgpr_workgroup_info 0
		.amdhsa_system_vgpr_workitem_id 0
		.amdhsa_next_free_vgpr 10
		.amdhsa_next_free_sgpr 19
		.amdhsa_reserve_vcc 1
		.amdhsa_reserve_flat_scratch 0
		.amdhsa_float_round_mode_32 0
		.amdhsa_float_round_mode_16_64 0
		.amdhsa_float_denorm_mode_32 3
		.amdhsa_float_denorm_mode_16_64 3
		.amdhsa_dx10_clamp 1
		.amdhsa_ieee_mode 1
		.amdhsa_fp16_overflow 0
		.amdhsa_exception_fp_ieee_invalid_op 0
		.amdhsa_exception_fp_denorm_src 0
		.amdhsa_exception_fp_ieee_div_zero 0
		.amdhsa_exception_fp_ieee_overflow 0
		.amdhsa_exception_fp_ieee_underflow 0
		.amdhsa_exception_fp_ieee_inexact 0
		.amdhsa_exception_int_div_zero 0
	.end_amdhsa_kernel
	.section	.text._ZN9rocsparseL14csr2coo_kernelILj256ELj64EilEEvT2_PKT1_S4_PS1_21rocsparse_index_base_,"axG",@progbits,_ZN9rocsparseL14csr2coo_kernelILj256ELj64EilEEvT2_PKT1_S4_PS1_21rocsparse_index_base_,comdat
.Lfunc_end21:
	.size	_ZN9rocsparseL14csr2coo_kernelILj256ELj64EilEEvT2_PKT1_S4_PS1_21rocsparse_index_base_, .Lfunc_end21-_ZN9rocsparseL14csr2coo_kernelILj256ELj64EilEEvT2_PKT1_S4_PS1_21rocsparse_index_base_
                                        ; -- End function
	.set _ZN9rocsparseL14csr2coo_kernelILj256ELj64EilEEvT2_PKT1_S4_PS1_21rocsparse_index_base_.num_vgpr, 10
	.set _ZN9rocsparseL14csr2coo_kernelILj256ELj64EilEEvT2_PKT1_S4_PS1_21rocsparse_index_base_.num_agpr, 0
	.set _ZN9rocsparseL14csr2coo_kernelILj256ELj64EilEEvT2_PKT1_S4_PS1_21rocsparse_index_base_.numbered_sgpr, 19
	.set _ZN9rocsparseL14csr2coo_kernelILj256ELj64EilEEvT2_PKT1_S4_PS1_21rocsparse_index_base_.num_named_barrier, 0
	.set _ZN9rocsparseL14csr2coo_kernelILj256ELj64EilEEvT2_PKT1_S4_PS1_21rocsparse_index_base_.private_seg_size, 0
	.set _ZN9rocsparseL14csr2coo_kernelILj256ELj64EilEEvT2_PKT1_S4_PS1_21rocsparse_index_base_.uses_vcc, 1
	.set _ZN9rocsparseL14csr2coo_kernelILj256ELj64EilEEvT2_PKT1_S4_PS1_21rocsparse_index_base_.uses_flat_scratch, 0
	.set _ZN9rocsparseL14csr2coo_kernelILj256ELj64EilEEvT2_PKT1_S4_PS1_21rocsparse_index_base_.has_dyn_sized_stack, 0
	.set _ZN9rocsparseL14csr2coo_kernelILj256ELj64EilEEvT2_PKT1_S4_PS1_21rocsparse_index_base_.has_recursion, 0
	.set _ZN9rocsparseL14csr2coo_kernelILj256ELj64EilEEvT2_PKT1_S4_PS1_21rocsparse_index_base_.has_indirect_call, 0
	.section	.AMDGPU.csdata,"",@progbits
; Kernel info:
; codeLenInByte = 1392
; TotalNumSgprs: 23
; NumVgprs: 10
; ScratchSize: 0
; MemoryBound: 0
; FloatMode: 240
; IeeeMode: 1
; LDSByteSize: 20 bytes/workgroup (compile time only)
; SGPRBlocks: 2
; VGPRBlocks: 2
; NumSGPRsForWavesPerEU: 23
; NumVGPRsForWavesPerEU: 10
; Occupancy: 10
; WaveLimiterHint : 0
; COMPUTE_PGM_RSRC2:SCRATCH_EN: 0
; COMPUTE_PGM_RSRC2:USER_SGPR: 6
; COMPUTE_PGM_RSRC2:TRAP_HANDLER: 0
; COMPUTE_PGM_RSRC2:TGID_X_EN: 1
; COMPUTE_PGM_RSRC2:TGID_Y_EN: 0
; COMPUTE_PGM_RSRC2:TGID_Z_EN: 0
; COMPUTE_PGM_RSRC2:TIDIG_COMP_CNT: 0
	.section	.text._ZN9rocsparseL14csr2coo_kernelILj256ELj128EilEEvT2_PKT1_S4_PS1_21rocsparse_index_base_,"axG",@progbits,_ZN9rocsparseL14csr2coo_kernelILj256ELj128EilEEvT2_PKT1_S4_PS1_21rocsparse_index_base_,comdat
	.globl	_ZN9rocsparseL14csr2coo_kernelILj256ELj128EilEEvT2_PKT1_S4_PS1_21rocsparse_index_base_ ; -- Begin function _ZN9rocsparseL14csr2coo_kernelILj256ELj128EilEEvT2_PKT1_S4_PS1_21rocsparse_index_base_
	.p2align	8
	.type	_ZN9rocsparseL14csr2coo_kernelILj256ELj128EilEEvT2_PKT1_S4_PS1_21rocsparse_index_base_,@function
_ZN9rocsparseL14csr2coo_kernelILj256ELj128EilEEvT2_PKT1_S4_PS1_21rocsparse_index_base_: ; @_ZN9rocsparseL14csr2coo_kernelILj256ELj128EilEEvT2_PKT1_S4_PS1_21rocsparse_index_base_
; %bb.0:
	s_load_dwordx8 s[8:15], s[4:5], 0x0
	s_load_dword s18, s[4:5], 0x20
	v_lshrrev_b32_e32 v7, 7, v0
	v_mov_b32_e32 v1, 1
	v_mov_b32_e32 v2, 0
	s_lshl_b32 s2, s6, 1
	ds_write_b32 v2, v1 offset:8
	v_or_b32_e32 v1, s2, v7
	s_waitcnt lgkmcnt(0)
	v_cmp_gt_i64_e32 vcc, s[8:9], v[1:2]
	v_lshlrev_b64 v[3:4], 2, v[1:2]
	v_mov_b32_e32 v5, v2
	s_barrier
	s_and_saveexec_b64 s[4:5], vcc
	s_cbranch_execz .LBB22_2
; %bb.1:
	v_mov_b32_e32 v6, s11
	v_add_co_u32_e64 v5, s[0:1], s10, v3
	v_addc_co_u32_e64 v6, s[0:1], v6, v4, s[0:1]
	global_load_dword v5, v[5:6], off
	s_waitcnt vmcnt(0)
	v_subrev_u32_e32 v5, s18, v5
.LBB22_2:
	s_or_b64 exec, exec, s[4:5]
	s_and_saveexec_b64 s[0:1], vcc
	s_cbranch_execz .LBB22_4
; %bb.3:
	v_mov_b32_e32 v6, s13
	v_add_co_u32_e32 v2, vcc, s12, v3
	v_addc_co_u32_e32 v3, vcc, v6, v4, vcc
	global_load_dword v2, v[2:3], off
	s_waitcnt vmcnt(0)
	v_subrev_u32_e32 v2, s18, v2
.LBB22_4:
	s_or_b64 exec, exec, s[0:1]
	v_sub_u32_e32 v3, v2, v5
	s_movk_i32 s0, 0x401
	v_cmp_gt_u32_e32 vcc, s0, v3
	s_movk_i32 s0, 0x400
	v_cmp_lt_u32_e64 s[0:1], s0, v3
	s_and_saveexec_b64 s[4:5], s[0:1]
	s_xor_b64 s[0:1], exec, s[4:5]
; %bb.5:
	v_mov_b32_e32 v1, 0
	ds_write_b32 v1, v1 offset:8
                                        ; implicit-def: $vgpr5
                                        ; implicit-def: $vgpr2
; %bb.6:
	s_andn2_saveexec_b64 s[4:5], s[0:1]
	s_cbranch_execz .LBB22_11
; %bb.7:
	v_and_b32_e32 v3, 0x7f, v0
	v_add_u32_e32 v3, v5, v3
	v_cmp_lt_i32_e64 s[0:1], v3, v2
	s_and_saveexec_b64 s[6:7], s[0:1]
	s_cbranch_execz .LBB22_10
; %bb.8:
	v_add_co_u32_e64 v5, s[0:1], s18, v1
	v_addc_co_u32_e64 v6, s[0:1], 0, 0, s[0:1]
	s_mov_b64 s[16:17], 0
	v_mov_b32_e32 v1, s15
.LBB22_9:                               ; =>This Inner Loop Header: Depth=1
	v_ashrrev_i32_e32 v4, 31, v3
	v_lshlrev_b64 v[8:9], 3, v[3:4]
	v_add_u32_e32 v3, 0x80, v3
	v_add_co_u32_e64 v8, s[0:1], s14, v8
	v_addc_co_u32_e64 v9, s[0:1], v1, v9, s[0:1]
	v_cmp_ge_i32_e64 s[0:1], v3, v2
	s_or_b64 s[16:17], s[0:1], s[16:17]
	global_store_dwordx2 v[8:9], v[5:6], off
	s_andn2_b64 exec, exec, s[16:17]
	s_cbranch_execnz .LBB22_9
.LBB22_10:
	s_or_b64 exec, exec, s[6:7]
.LBB22_11:
	s_or_b64 exec, exec, s[4:5]
	v_cndmask_b32_e64 v1, 0, 1, vcc
	v_lshlrev_b32_e32 v2, 2, v7
	ds_write_b32 v2, v1
	v_mov_b32_e32 v1, 0
	s_waitcnt vmcnt(0) lgkmcnt(0)
	s_barrier
	ds_read_b32 v2, v1 offset:8
	s_waitcnt lgkmcnt(0)
	v_cmp_ne_u32_e32 vcc, 0, v2
	s_cbranch_vccnz .LBB22_29
; %bb.12:
	ds_read_b32 v1, v1
	s_mov_b32 s3, 0
	s_waitcnt lgkmcnt(0)
	v_cmp_ne_u32_e32 vcc, 0, v1
	s_cbranch_vccnz .LBB22_21
; %bb.13:
	v_mov_b32_e32 v1, s2
	v_mov_b32_e32 v2, s3
	v_cmp_le_i64_e32 vcc, s[8:9], v[1:2]
	v_cmp_gt_i64_e64 s[0:1], s[8:9], v[1:2]
	s_mov_b32 s6, 0
	s_mov_b32 s4, 0
	s_cbranch_vccz .LBB22_16
; %bb.14:
	s_andn2_b64 vcc, exec, s[0:1]
	s_cbranch_vccz .LBB22_17
.LBB22_15:
	v_add_u32_e32 v1, s4, v0
	v_cmp_gt_i32_e32 vcc, s6, v1
	s_and_saveexec_b64 s[0:1], vcc
	s_cbranch_execnz .LBB22_18
	s_branch .LBB22_20
.LBB22_16:
	s_lshl_b64 s[4:5], s[2:3], 2
	s_add_u32 s4, s10, s4
	s_addc_u32 s5, s11, s5
	s_load_dword s4, s[4:5], 0x0
	s_waitcnt lgkmcnt(0)
	s_sub_i32 s4, s4, s18
	s_andn2_b64 vcc, exec, s[0:1]
	s_cbranch_vccnz .LBB22_15
.LBB22_17:
	s_lshl_b64 s[0:1], s[2:3], 2
	s_add_u32 s0, s12, s0
	s_addc_u32 s1, s13, s1
	s_load_dword s0, s[0:1], 0x0
	s_waitcnt lgkmcnt(0)
	s_sub_i32 s6, s0, s18
	v_add_u32_e32 v1, s4, v0
	v_cmp_gt_i32_e32 vcc, s6, v1
	s_and_saveexec_b64 s[0:1], vcc
	s_cbranch_execz .LBB22_20
.LBB22_18:
	s_add_u32 s16, s2, s18
	s_addc_u32 s17, 0, 0
	v_mov_b32_e32 v3, s16
	s_mov_b64 s[4:5], 0
	v_mov_b32_e32 v5, s15
	v_mov_b32_e32 v4, s17
.LBB22_19:                              ; =>This Inner Loop Header: Depth=1
	v_ashrrev_i32_e32 v2, 31, v1
	v_lshlrev_b64 v[6:7], 3, v[1:2]
	v_add_u32_e32 v1, 0x100, v1
	v_add_co_u32_e32 v6, vcc, s14, v6
	v_addc_co_u32_e32 v7, vcc, v5, v7, vcc
	v_cmp_le_i32_e32 vcc, s6, v1
	s_or_b64 s[4:5], vcc, s[4:5]
	global_store_dwordx2 v[6:7], v[3:4], off
	s_andn2_b64 exec, exec, s[4:5]
	s_cbranch_execnz .LBB22_19
.LBB22_20:
	s_or_b64 exec, exec, s[0:1]
.LBB22_21:
	v_mov_b32_e32 v1, 0
	ds_read_b32 v1, v1 offset:4
	s_waitcnt lgkmcnt(0)
	v_cmp_ne_u32_e32 vcc, 0, v1
	s_cbranch_vccnz .LBB22_29
; %bb.22:
	s_or_b32 s4, s2, 1
	s_mov_b32 s5, s3
	v_mov_b32_e32 v1, s4
	v_mov_b32_e32 v2, s5
	v_cmp_le_i64_e32 vcc, s[8:9], v[1:2]
	v_cmp_gt_i64_e64 s[0:1], s[8:9], v[1:2]
	s_mov_b32 s6, s3
	s_cbranch_vccz .LBB22_25
; %bb.23:
	s_andn2_b64 vcc, exec, s[0:1]
	s_mov_b32 s5, 0
	s_cbranch_vccz .LBB22_26
.LBB22_24:
	v_add_u32_e32 v0, s6, v0
	v_cmp_gt_i32_e32 vcc, s5, v0
	s_and_saveexec_b64 s[0:1], vcc
	s_cbranch_execnz .LBB22_27
	s_branch .LBB22_29
.LBB22_25:
	s_lshl_b64 s[6:7], s[2:3], 2
	s_add_u32 s6, s10, s6
	s_addc_u32 s7, s11, s7
	s_load_dword s5, s[6:7], 0x4
	s_waitcnt lgkmcnt(0)
	s_sub_i32 s6, s5, s18
	s_andn2_b64 vcc, exec, s[0:1]
	s_mov_b32 s5, 0
	s_cbranch_vccnz .LBB22_24
.LBB22_26:
	s_lshl_b64 s[0:1], s[2:3], 2
	s_add_u32 s0, s12, s0
	s_addc_u32 s1, s13, s1
	s_load_dword s0, s[0:1], 0x4
	s_waitcnt lgkmcnt(0)
	s_sub_i32 s5, s0, s18
	v_add_u32_e32 v0, s6, v0
	v_cmp_gt_i32_e32 vcc, s5, v0
	s_and_saveexec_b64 s[0:1], vcc
	s_cbranch_execz .LBB22_29
.LBB22_27:
	s_add_u32 s2, s4, s18
	s_addc_u32 s3, 0, 0
	v_mov_b32_e32 v2, s2
	s_mov_b64 s[0:1], 0
	v_mov_b32_e32 v4, s15
	v_mov_b32_e32 v3, s3
.LBB22_28:                              ; =>This Inner Loop Header: Depth=1
	v_ashrrev_i32_e32 v1, 31, v0
	v_lshlrev_b64 v[5:6], 3, v[0:1]
	v_add_u32_e32 v0, 0x100, v0
	v_add_co_u32_e32 v5, vcc, s14, v5
	v_addc_co_u32_e32 v6, vcc, v4, v6, vcc
	v_cmp_le_i32_e32 vcc, s5, v0
	s_or_b64 s[0:1], vcc, s[0:1]
	global_store_dwordx2 v[5:6], v[2:3], off
	s_andn2_b64 exec, exec, s[0:1]
	s_cbranch_execnz .LBB22_28
.LBB22_29:
	s_endpgm
	.section	.rodata,"a",@progbits
	.p2align	6, 0x0
	.amdhsa_kernel _ZN9rocsparseL14csr2coo_kernelILj256ELj128EilEEvT2_PKT1_S4_PS1_21rocsparse_index_base_
		.amdhsa_group_segment_fixed_size 12
		.amdhsa_private_segment_fixed_size 0
		.amdhsa_kernarg_size 36
		.amdhsa_user_sgpr_count 6
		.amdhsa_user_sgpr_private_segment_buffer 1
		.amdhsa_user_sgpr_dispatch_ptr 0
		.amdhsa_user_sgpr_queue_ptr 0
		.amdhsa_user_sgpr_kernarg_segment_ptr 1
		.amdhsa_user_sgpr_dispatch_id 0
		.amdhsa_user_sgpr_flat_scratch_init 0
		.amdhsa_user_sgpr_private_segment_size 0
		.amdhsa_uses_dynamic_stack 0
		.amdhsa_system_sgpr_private_segment_wavefront_offset 0
		.amdhsa_system_sgpr_workgroup_id_x 1
		.amdhsa_system_sgpr_workgroup_id_y 0
		.amdhsa_system_sgpr_workgroup_id_z 0
		.amdhsa_system_sgpr_workgroup_info 0
		.amdhsa_system_vgpr_workitem_id 0
		.amdhsa_next_free_vgpr 10
		.amdhsa_next_free_sgpr 19
		.amdhsa_reserve_vcc 1
		.amdhsa_reserve_flat_scratch 0
		.amdhsa_float_round_mode_32 0
		.amdhsa_float_round_mode_16_64 0
		.amdhsa_float_denorm_mode_32 3
		.amdhsa_float_denorm_mode_16_64 3
		.amdhsa_dx10_clamp 1
		.amdhsa_ieee_mode 1
		.amdhsa_fp16_overflow 0
		.amdhsa_exception_fp_ieee_invalid_op 0
		.amdhsa_exception_fp_denorm_src 0
		.amdhsa_exception_fp_ieee_div_zero 0
		.amdhsa_exception_fp_ieee_overflow 0
		.amdhsa_exception_fp_ieee_underflow 0
		.amdhsa_exception_fp_ieee_inexact 0
		.amdhsa_exception_int_div_zero 0
	.end_amdhsa_kernel
	.section	.text._ZN9rocsparseL14csr2coo_kernelILj256ELj128EilEEvT2_PKT1_S4_PS1_21rocsparse_index_base_,"axG",@progbits,_ZN9rocsparseL14csr2coo_kernelILj256ELj128EilEEvT2_PKT1_S4_PS1_21rocsparse_index_base_,comdat
.Lfunc_end22:
	.size	_ZN9rocsparseL14csr2coo_kernelILj256ELj128EilEEvT2_PKT1_S4_PS1_21rocsparse_index_base_, .Lfunc_end22-_ZN9rocsparseL14csr2coo_kernelILj256ELj128EilEEvT2_PKT1_S4_PS1_21rocsparse_index_base_
                                        ; -- End function
	.set _ZN9rocsparseL14csr2coo_kernelILj256ELj128EilEEvT2_PKT1_S4_PS1_21rocsparse_index_base_.num_vgpr, 10
	.set _ZN9rocsparseL14csr2coo_kernelILj256ELj128EilEEvT2_PKT1_S4_PS1_21rocsparse_index_base_.num_agpr, 0
	.set _ZN9rocsparseL14csr2coo_kernelILj256ELj128EilEEvT2_PKT1_S4_PS1_21rocsparse_index_base_.numbered_sgpr, 19
	.set _ZN9rocsparseL14csr2coo_kernelILj256ELj128EilEEvT2_PKT1_S4_PS1_21rocsparse_index_base_.num_named_barrier, 0
	.set _ZN9rocsparseL14csr2coo_kernelILj256ELj128EilEEvT2_PKT1_S4_PS1_21rocsparse_index_base_.private_seg_size, 0
	.set _ZN9rocsparseL14csr2coo_kernelILj256ELj128EilEEvT2_PKT1_S4_PS1_21rocsparse_index_base_.uses_vcc, 1
	.set _ZN9rocsparseL14csr2coo_kernelILj256ELj128EilEEvT2_PKT1_S4_PS1_21rocsparse_index_base_.uses_flat_scratch, 0
	.set _ZN9rocsparseL14csr2coo_kernelILj256ELj128EilEEvT2_PKT1_S4_PS1_21rocsparse_index_base_.has_dyn_sized_stack, 0
	.set _ZN9rocsparseL14csr2coo_kernelILj256ELj128EilEEvT2_PKT1_S4_PS1_21rocsparse_index_base_.has_recursion, 0
	.set _ZN9rocsparseL14csr2coo_kernelILj256ELj128EilEEvT2_PKT1_S4_PS1_21rocsparse_index_base_.has_indirect_call, 0
	.section	.AMDGPU.csdata,"",@progbits
; Kernel info:
; codeLenInByte = 884
; TotalNumSgprs: 23
; NumVgprs: 10
; ScratchSize: 0
; MemoryBound: 0
; FloatMode: 240
; IeeeMode: 1
; LDSByteSize: 12 bytes/workgroup (compile time only)
; SGPRBlocks: 2
; VGPRBlocks: 2
; NumSGPRsForWavesPerEU: 23
; NumVGPRsForWavesPerEU: 10
; Occupancy: 10
; WaveLimiterHint : 0
; COMPUTE_PGM_RSRC2:SCRATCH_EN: 0
; COMPUTE_PGM_RSRC2:USER_SGPR: 6
; COMPUTE_PGM_RSRC2:TRAP_HANDLER: 0
; COMPUTE_PGM_RSRC2:TGID_X_EN: 1
; COMPUTE_PGM_RSRC2:TGID_Y_EN: 0
; COMPUTE_PGM_RSRC2:TGID_Z_EN: 0
; COMPUTE_PGM_RSRC2:TIDIG_COMP_CNT: 0
	.section	.text._ZN9rocsparseL14csr2coo_kernelILj256ELj256EilEEvT2_PKT1_S4_PS1_21rocsparse_index_base_,"axG",@progbits,_ZN9rocsparseL14csr2coo_kernelILj256ELj256EilEEvT2_PKT1_S4_PS1_21rocsparse_index_base_,comdat
	.globl	_ZN9rocsparseL14csr2coo_kernelILj256ELj256EilEEvT2_PKT1_S4_PS1_21rocsparse_index_base_ ; -- Begin function _ZN9rocsparseL14csr2coo_kernelILj256ELj256EilEEvT2_PKT1_S4_PS1_21rocsparse_index_base_
	.p2align	8
	.type	_ZN9rocsparseL14csr2coo_kernelILj256ELj256EilEEvT2_PKT1_S4_PS1_21rocsparse_index_base_,@function
_ZN9rocsparseL14csr2coo_kernelILj256ELj256EilEEvT2_PKT1_S4_PS1_21rocsparse_index_base_: ; @_ZN9rocsparseL14csr2coo_kernelILj256ELj256EilEEvT2_PKT1_S4_PS1_21rocsparse_index_base_
; %bb.0:
	s_load_dwordx8 s[8:15], s[4:5], 0x0
	s_load_dword s18, s[4:5], 0x20
	v_mov_b32_e32 v5, 0
	v_mov_b32_e32 v1, 1
	s_mov_b32 s7, 0
	s_waitcnt lgkmcnt(0)
	v_mov_b32_e32 v3, s8
	v_mov_b32_e32 v4, s9
	ds_write_b32 v5, v1 offset:4
	v_mov_b32_e32 v1, s6
	v_cmp_lt_i64_e32 vcc, s[6:7], v[3:4]
	v_lshlrev_b64 v[3:4], 2, s[6:7]
	v_mov_b32_e32 v2, s7
	v_mov_b32_e32 v6, 0
	s_waitcnt lgkmcnt(0)
	s_barrier
	s_and_saveexec_b64 s[2:3], vcc
	s_cbranch_execz .LBB23_2
; %bb.1:
	v_mov_b32_e32 v7, s11
	v_add_co_u32_e64 v6, s[0:1], s10, v3
	v_addc_co_u32_e64 v7, s[0:1], v7, v4, s[0:1]
	global_load_dword v6, v[6:7], off
	s_waitcnt vmcnt(0)
	v_subrev_u32_e32 v6, s18, v6
.LBB23_2:
	s_or_b64 exec, exec, s[2:3]
	s_and_saveexec_b64 s[0:1], vcc
	s_cbranch_execz .LBB23_4
; %bb.3:
	v_mov_b32_e32 v5, s13
	v_add_co_u32_e32 v3, vcc, s12, v3
	v_addc_co_u32_e32 v4, vcc, v5, v4, vcc
	global_load_dword v3, v[3:4], off
	s_waitcnt vmcnt(0)
	v_subrev_u32_e32 v5, s18, v3
.LBB23_4:
	s_or_b64 exec, exec, s[0:1]
	v_sub_u32_e32 v3, v5, v6
	s_movk_i32 s0, 0x801
	v_cmp_gt_u32_e32 vcc, s0, v3
	s_movk_i32 s0, 0x800
	v_cmp_lt_u32_e64 s[0:1], s0, v3
	s_and_saveexec_b64 s[2:3], s[0:1]
	s_xor_b64 s[0:1], exec, s[2:3]
; %bb.5:
	v_mov_b32_e32 v1, 0
	ds_write_b32 v1, v1 offset:4
                                        ; implicit-def: $vgpr6
                                        ; implicit-def: $vgpr5
                                        ; implicit-def: $vgpr1_vgpr2
; %bb.6:
	s_andn2_saveexec_b64 s[2:3], s[0:1]
	s_cbranch_execz .LBB23_11
; %bb.7:
	v_add_u32_e32 v3, v6, v0
	v_cmp_lt_i32_e64 s[0:1], v3, v5
	s_and_saveexec_b64 s[4:5], s[0:1]
	s_cbranch_execz .LBB23_10
; %bb.8:
	v_add_co_u32_e64 v1, s[0:1], s18, v1
	v_addc_co_u32_e64 v2, s[0:1], 0, v2, s[0:1]
	s_mov_b64 s[16:17], 0
	v_mov_b32_e32 v6, s15
.LBB23_9:                               ; =>This Inner Loop Header: Depth=1
	v_ashrrev_i32_e32 v4, 31, v3
	v_lshlrev_b64 v[7:8], 3, v[3:4]
	v_add_u32_e32 v3, 0x100, v3
	v_add_co_u32_e64 v7, s[0:1], s14, v7
	v_addc_co_u32_e64 v8, s[0:1], v6, v8, s[0:1]
	v_cmp_ge_i32_e64 s[0:1], v3, v5
	s_or_b64 s[16:17], s[0:1], s[16:17]
	global_store_dwordx2 v[7:8], v[1:2], off
	s_andn2_b64 exec, exec, s[16:17]
	s_cbranch_execnz .LBB23_9
.LBB23_10:
	s_or_b64 exec, exec, s[4:5]
.LBB23_11:
	s_or_b64 exec, exec, s[2:3]
	v_cndmask_b32_e64 v2, 0, 1, vcc
	v_mov_b32_e32 v1, 0
	ds_write_b32 v1, v2
	s_waitcnt vmcnt(0) lgkmcnt(0)
	s_barrier
	ds_read_b32 v2, v1 offset:4
	s_waitcnt lgkmcnt(0)
	v_cmp_ne_u32_e32 vcc, 0, v2
	s_cbranch_vccnz .LBB23_20
; %bb.12:
	ds_read_b32 v1, v1
	s_waitcnt lgkmcnt(0)
	v_cmp_ne_u32_e32 vcc, 0, v1
	s_cbranch_vccnz .LBB23_20
; %bb.13:
	v_mov_b32_e32 v1, s6
	v_mov_b32_e32 v2, s7
	v_cmp_le_i64_e32 vcc, s[8:9], v[1:2]
	v_cmp_gt_i64_e64 s[0:1], s[8:9], v[1:2]
	s_mov_b32 s2, 0
	s_mov_b32 s3, 0
	s_cbranch_vccz .LBB23_16
; %bb.14:
	s_andn2_b64 vcc, exec, s[0:1]
	s_cbranch_vccz .LBB23_17
.LBB23_15:
	v_add_u32_e32 v0, s3, v0
	v_cmp_gt_i32_e32 vcc, s2, v0
	s_and_saveexec_b64 s[0:1], vcc
	s_cbranch_execnz .LBB23_18
	s_branch .LBB23_20
.LBB23_16:
	s_lshl_b64 s[4:5], s[6:7], 2
	s_add_u32 s4, s10, s4
	s_addc_u32 s5, s11, s5
	s_load_dword s3, s[4:5], 0x0
	s_waitcnt lgkmcnt(0)
	s_sub_i32 s3, s3, s18
	s_andn2_b64 vcc, exec, s[0:1]
	s_cbranch_vccnz .LBB23_15
.LBB23_17:
	s_lshl_b64 s[0:1], s[6:7], 2
	s_add_u32 s0, s12, s0
	s_addc_u32 s1, s13, s1
	s_load_dword s0, s[0:1], 0x0
	s_waitcnt lgkmcnt(0)
	s_sub_i32 s2, s0, s18
	v_add_u32_e32 v0, s3, v0
	v_cmp_gt_i32_e32 vcc, s2, v0
	s_and_saveexec_b64 s[0:1], vcc
	s_cbranch_execz .LBB23_20
.LBB23_18:
	s_add_u32 s4, s18, s6
	s_addc_u32 s5, 0, 0
	v_mov_b32_e32 v2, s4
	s_mov_b64 s[0:1], 0
	v_mov_b32_e32 v4, s15
	v_mov_b32_e32 v3, s5
.LBB23_19:                              ; =>This Inner Loop Header: Depth=1
	v_ashrrev_i32_e32 v1, 31, v0
	v_lshlrev_b64 v[5:6], 3, v[0:1]
	v_add_u32_e32 v0, 0x100, v0
	v_add_co_u32_e32 v5, vcc, s14, v5
	v_addc_co_u32_e32 v6, vcc, v4, v6, vcc
	v_cmp_le_i32_e32 vcc, s2, v0
	s_or_b64 s[0:1], vcc, s[0:1]
	global_store_dwordx2 v[5:6], v[2:3], off
	s_andn2_b64 exec, exec, s[0:1]
	s_cbranch_execnz .LBB23_19
.LBB23_20:
	s_endpgm
	.section	.rodata,"a",@progbits
	.p2align	6, 0x0
	.amdhsa_kernel _ZN9rocsparseL14csr2coo_kernelILj256ELj256EilEEvT2_PKT1_S4_PS1_21rocsparse_index_base_
		.amdhsa_group_segment_fixed_size 8
		.amdhsa_private_segment_fixed_size 0
		.amdhsa_kernarg_size 36
		.amdhsa_user_sgpr_count 6
		.amdhsa_user_sgpr_private_segment_buffer 1
		.amdhsa_user_sgpr_dispatch_ptr 0
		.amdhsa_user_sgpr_queue_ptr 0
		.amdhsa_user_sgpr_kernarg_segment_ptr 1
		.amdhsa_user_sgpr_dispatch_id 0
		.amdhsa_user_sgpr_flat_scratch_init 0
		.amdhsa_user_sgpr_private_segment_size 0
		.amdhsa_uses_dynamic_stack 0
		.amdhsa_system_sgpr_private_segment_wavefront_offset 0
		.amdhsa_system_sgpr_workgroup_id_x 1
		.amdhsa_system_sgpr_workgroup_id_y 0
		.amdhsa_system_sgpr_workgroup_id_z 0
		.amdhsa_system_sgpr_workgroup_info 0
		.amdhsa_system_vgpr_workitem_id 0
		.amdhsa_next_free_vgpr 9
		.amdhsa_next_free_sgpr 19
		.amdhsa_reserve_vcc 1
		.amdhsa_reserve_flat_scratch 0
		.amdhsa_float_round_mode_32 0
		.amdhsa_float_round_mode_16_64 0
		.amdhsa_float_denorm_mode_32 3
		.amdhsa_float_denorm_mode_16_64 3
		.amdhsa_dx10_clamp 1
		.amdhsa_ieee_mode 1
		.amdhsa_fp16_overflow 0
		.amdhsa_exception_fp_ieee_invalid_op 0
		.amdhsa_exception_fp_denorm_src 0
		.amdhsa_exception_fp_ieee_div_zero 0
		.amdhsa_exception_fp_ieee_overflow 0
		.amdhsa_exception_fp_ieee_underflow 0
		.amdhsa_exception_fp_ieee_inexact 0
		.amdhsa_exception_int_div_zero 0
	.end_amdhsa_kernel
	.section	.text._ZN9rocsparseL14csr2coo_kernelILj256ELj256EilEEvT2_PKT1_S4_PS1_21rocsparse_index_base_,"axG",@progbits,_ZN9rocsparseL14csr2coo_kernelILj256ELj256EilEEvT2_PKT1_S4_PS1_21rocsparse_index_base_,comdat
.Lfunc_end23:
	.size	_ZN9rocsparseL14csr2coo_kernelILj256ELj256EilEEvT2_PKT1_S4_PS1_21rocsparse_index_base_, .Lfunc_end23-_ZN9rocsparseL14csr2coo_kernelILj256ELj256EilEEvT2_PKT1_S4_PS1_21rocsparse_index_base_
                                        ; -- End function
	.set _ZN9rocsparseL14csr2coo_kernelILj256ELj256EilEEvT2_PKT1_S4_PS1_21rocsparse_index_base_.num_vgpr, 9
	.set _ZN9rocsparseL14csr2coo_kernelILj256ELj256EilEEvT2_PKT1_S4_PS1_21rocsparse_index_base_.num_agpr, 0
	.set _ZN9rocsparseL14csr2coo_kernelILj256ELj256EilEEvT2_PKT1_S4_PS1_21rocsparse_index_base_.numbered_sgpr, 19
	.set _ZN9rocsparseL14csr2coo_kernelILj256ELj256EilEEvT2_PKT1_S4_PS1_21rocsparse_index_base_.num_named_barrier, 0
	.set _ZN9rocsparseL14csr2coo_kernelILj256ELj256EilEEvT2_PKT1_S4_PS1_21rocsparse_index_base_.private_seg_size, 0
	.set _ZN9rocsparseL14csr2coo_kernelILj256ELj256EilEEvT2_PKT1_S4_PS1_21rocsparse_index_base_.uses_vcc, 1
	.set _ZN9rocsparseL14csr2coo_kernelILj256ELj256EilEEvT2_PKT1_S4_PS1_21rocsparse_index_base_.uses_flat_scratch, 0
	.set _ZN9rocsparseL14csr2coo_kernelILj256ELj256EilEEvT2_PKT1_S4_PS1_21rocsparse_index_base_.has_dyn_sized_stack, 0
	.set _ZN9rocsparseL14csr2coo_kernelILj256ELj256EilEEvT2_PKT1_S4_PS1_21rocsparse_index_base_.has_recursion, 0
	.set _ZN9rocsparseL14csr2coo_kernelILj256ELj256EilEEvT2_PKT1_S4_PS1_21rocsparse_index_base_.has_indirect_call, 0
	.section	.AMDGPU.csdata,"",@progbits
; Kernel info:
; codeLenInByte = 624
; TotalNumSgprs: 23
; NumVgprs: 9
; ScratchSize: 0
; MemoryBound: 0
; FloatMode: 240
; IeeeMode: 1
; LDSByteSize: 8 bytes/workgroup (compile time only)
; SGPRBlocks: 2
; VGPRBlocks: 2
; NumSGPRsForWavesPerEU: 23
; NumVGPRsForWavesPerEU: 9
; Occupancy: 10
; WaveLimiterHint : 0
; COMPUTE_PGM_RSRC2:SCRATCH_EN: 0
; COMPUTE_PGM_RSRC2:USER_SGPR: 6
; COMPUTE_PGM_RSRC2:TRAP_HANDLER: 0
; COMPUTE_PGM_RSRC2:TGID_X_EN: 1
; COMPUTE_PGM_RSRC2:TGID_Y_EN: 0
; COMPUTE_PGM_RSRC2:TGID_Z_EN: 0
; COMPUTE_PGM_RSRC2:TIDIG_COMP_CNT: 0
	.section	.text._ZN9rocsparseL14csr2coo_kernelILj256ELj2EllEEvT2_PKT1_S4_PS1_21rocsparse_index_base_,"axG",@progbits,_ZN9rocsparseL14csr2coo_kernelILj256ELj2EllEEvT2_PKT1_S4_PS1_21rocsparse_index_base_,comdat
	.globl	_ZN9rocsparseL14csr2coo_kernelILj256ELj2EllEEvT2_PKT1_S4_PS1_21rocsparse_index_base_ ; -- Begin function _ZN9rocsparseL14csr2coo_kernelILj256ELj2EllEEvT2_PKT1_S4_PS1_21rocsparse_index_base_
	.p2align	8
	.type	_ZN9rocsparseL14csr2coo_kernelILj256ELj2EllEEvT2_PKT1_S4_PS1_21rocsparse_index_base_,@function
_ZN9rocsparseL14csr2coo_kernelILj256ELj2EllEEvT2_PKT1_S4_PS1_21rocsparse_index_base_: ; @_ZN9rocsparseL14csr2coo_kernelILj256ELj2EllEEvT2_PKT1_S4_PS1_21rocsparse_index_base_
; %bb.0:
	s_load_dwordx8 s[8:15], s[4:5], 0x0
	s_load_dword s18, s[4:5], 0x20
	v_lshrrev_b32_e32 v2, 1, v0
	s_lshl_b32 s19, s6, 7
	v_mov_b32_e32 v4, 0
	v_mov_b32_e32 v1, 1
	v_or_b32_e32 v3, s19, v2
	ds_write_b32 v4, v1 offset:512
	s_waitcnt lgkmcnt(0)
	v_cmp_gt_i64_e32 vcc, s[8:9], v[3:4]
	v_mov_b32_e32 v1, 0
	v_lshlrev_b64 v[7:8], 3, v[3:4]
	v_mov_b32_e32 v5, 0
	v_mov_b32_e32 v2, 0
	;; [unrolled: 1-line block ×3, first 2 shown]
	s_barrier
	s_and_saveexec_b64 s[2:3], vcc
	s_cbranch_execz .LBB24_2
; %bb.1:
	v_mov_b32_e32 v5, s11
	v_add_co_u32_e64 v4, s[0:1], s10, v7
	v_addc_co_u32_e64 v5, s[0:1], v5, v8, s[0:1]
	global_load_dwordx2 v[5:6], v[4:5], off
	s_waitcnt vmcnt(0)
	v_subrev_co_u32_e64 v5, s[0:1], s18, v5
	v_subbrev_co_u32_e64 v6, s[0:1], 0, v6, s[0:1]
.LBB24_2:
	s_or_b64 exec, exec, s[2:3]
	s_and_saveexec_b64 s[0:1], vcc
	s_cbranch_execz .LBB24_4
; %bb.3:
	v_mov_b32_e32 v2, s13
	v_add_co_u32_e32 v1, vcc, s12, v7
	v_addc_co_u32_e32 v2, vcc, v2, v8, vcc
	global_load_dwordx2 v[1:2], v[1:2], off
	s_waitcnt vmcnt(0)
	v_subrev_co_u32_e32 v1, vcc, s18, v1
	v_subbrev_co_u32_e32 v2, vcc, 0, v2, vcc
.LBB24_4:
	s_or_b64 exec, exec, s[0:1]
	v_sub_co_u32_e32 v7, vcc, v1, v5
	v_subb_co_u32_e32 v8, vcc, v2, v6, vcc
	v_cmp_gt_i64_e32 vcc, 17, v[7:8]
	v_cmp_lt_i64_e64 s[0:1], 16, v[7:8]
	s_and_saveexec_b64 s[2:3], s[0:1]
	s_xor_b64 s[0:1], exec, s[2:3]
; %bb.5:
	v_mov_b32_e32 v1, 0
	ds_write_b32 v1, v1 offset:512
                                        ; implicit-def: $vgpr5_vgpr6
                                        ; implicit-def: $vgpr1_vgpr2
                                        ; implicit-def: $vgpr3_vgpr4
; %bb.6:
	s_andn2_saveexec_b64 s[4:5], s[0:1]
	s_cbranch_execz .LBB24_11
; %bb.7:
	v_and_b32_e32 v4, 1, v0
	v_add_co_u32_e64 v4, s[0:1], v5, v4
	v_addc_co_u32_e64 v5, s[0:1], 0, v6, s[0:1]
	v_cmp_lt_i64_e64 s[0:1], v[4:5], v[1:2]
	s_and_saveexec_b64 s[6:7], s[0:1]
	s_cbranch_execz .LBB24_10
; %bb.8:
	v_add_co_u32_e64 v6, s[0:1], s18, v3
	v_lshlrev_b64 v[8:9], 3, v[4:5]
	v_addc_co_u32_e64 v7, s[0:1], 0, 0, s[0:1]
	v_mov_b32_e32 v3, s15
	v_add_co_u32_e64 v8, s[0:1], s14, v8
	v_addc_co_u32_e64 v9, s[0:1], v3, v9, s[0:1]
	s_mov_b64 s[16:17], 0
.LBB24_9:                               ; =>This Inner Loop Header: Depth=1
	v_add_co_u32_e64 v4, s[0:1], 2, v4
	v_addc_co_u32_e64 v5, s[0:1], 0, v5, s[0:1]
	v_cmp_ge_i64_e64 s[2:3], v[4:5], v[1:2]
	global_store_dwordx2 v[8:9], v[6:7], off
	v_add_co_u32_e64 v8, s[0:1], 16, v8
	s_or_b64 s[16:17], s[2:3], s[16:17]
	v_addc_co_u32_e64 v9, s[0:1], 0, v9, s[0:1]
	s_andn2_b64 exec, exec, s[16:17]
	s_cbranch_execnz .LBB24_9
.LBB24_10:
	s_or_b64 exec, exec, s[6:7]
.LBB24_11:
	s_or_b64 exec, exec, s[4:5]
	v_lshlrev_b32_e32 v2, 1, v0
	v_cndmask_b32_e64 v1, 0, 1, vcc
	v_and_b32_e32 v2, 0x1fc, v2
	v_mov_b32_e32 v7, 0
	ds_write_b32 v2, v1
	s_waitcnt vmcnt(0) lgkmcnt(0)
	s_barrier
	ds_read_b32 v1, v7 offset:512
	s_mov_b32 s3, 0
	s_waitcnt lgkmcnt(0)
	v_cmp_ne_u32_e32 vcc, 0, v1
	s_cbranch_vccz .LBB24_13
.LBB24_12:
	s_endpgm
.LBB24_13:
	s_or_b32 s20, s19, 1
	s_mov_b32 s21, 0
	s_branch .LBB24_16
.LBB24_14:                              ;   in Loop: Header=BB24_16 Depth=1
	s_or_b64 exec, exec, s[4:5]
.LBB24_15:                              ;   in Loop: Header=BB24_16 Depth=1
	s_add_i32 s21, s21, 2
	s_cmpk_lg_i32 s21, 0x80
	s_cbranch_scc0 .LBB24_12
.LBB24_16:                              ; =>This Loop Header: Depth=1
                                        ;     Child Loop BB24_23 Depth 2
                                        ;     Child Loop BB24_32 Depth 2
	s_lshl_b32 s22, s21, 2
	v_mov_b32_e32 v1, s22
	ds_read_b32 v1, v1
	s_waitcnt lgkmcnt(0)
	v_cmp_ne_u32_e32 vcc, 0, v1
	s_cbranch_vccnz .LBB24_25
; %bb.17:                               ;   in Loop: Header=BB24_16 Depth=1
	s_or_b32 s2, s21, s19
	v_mov_b32_e32 v1, s2
	v_mov_b32_e32 v2, s3
	v_cmp_le_i64_e32 vcc, s[8:9], v[1:2]
	v_cmp_gt_i64_e64 s[0:1], s[8:9], v[1:2]
	v_mov_b32_e32 v1, 0
	v_mov_b32_e32 v3, 0
	;; [unrolled: 1-line block ×4, first 2 shown]
	s_cbranch_vccnz .LBB24_19
; %bb.18:                               ;   in Loop: Header=BB24_16 Depth=1
	s_lshl_b64 s[4:5], s[2:3], 3
	s_add_u32 s4, s10, s4
	s_addc_u32 s5, s11, s5
	global_load_dwordx2 v[3:4], v7, s[4:5]
	s_waitcnt vmcnt(0)
	v_subrev_co_u32_e32 v3, vcc, s18, v3
	v_subbrev_co_u32_e32 v4, vcc, 0, v4, vcc
.LBB24_19:                              ;   in Loop: Header=BB24_16 Depth=1
	s_andn2_b64 vcc, exec, s[0:1]
	s_cbranch_vccnz .LBB24_21
; %bb.20:                               ;   in Loop: Header=BB24_16 Depth=1
	s_lshl_b64 s[0:1], s[2:3], 3
	s_add_u32 s0, s12, s0
	s_addc_u32 s1, s13, s1
	global_load_dwordx2 v[1:2], v7, s[0:1]
	s_waitcnt vmcnt(0)
	v_subrev_co_u32_e32 v1, vcc, s18, v1
	v_subbrev_co_u32_e32 v2, vcc, 0, v2, vcc
.LBB24_21:                              ;   in Loop: Header=BB24_16 Depth=1
	v_add_co_u32_e32 v3, vcc, v3, v0
	v_addc_co_u32_e32 v4, vcc, 0, v4, vcc
	v_cmp_lt_i64_e32 vcc, v[3:4], v[1:2]
	s_and_saveexec_b64 s[4:5], vcc
	s_cbranch_execz .LBB24_24
; %bb.22:                               ;   in Loop: Header=BB24_16 Depth=1
	v_lshlrev_b64 v[5:6], 3, v[3:4]
	s_add_u32 s6, s2, s18
	v_mov_b32_e32 v8, s15
	v_add_co_u32_e32 v5, vcc, s14, v5
	s_addc_u32 s7, 0, 0
	v_addc_co_u32_e32 v6, vcc, v8, v6, vcc
	s_mov_b64 s[16:17], 0
.LBB24_23:                              ;   Parent Loop BB24_16 Depth=1
                                        ; =>  This Inner Loop Header: Depth=2
	v_add_co_u32_e32 v3, vcc, 0x100, v3
	v_mov_b32_e32 v9, s7
	v_addc_co_u32_e32 v4, vcc, 0, v4, vcc
	v_mov_b32_e32 v8, s6
	v_cmp_ge_i64_e64 s[0:1], v[3:4], v[1:2]
	global_store_dwordx2 v[5:6], v[8:9], off
	v_add_co_u32_e32 v5, vcc, 0x800, v5
	s_or_b64 s[16:17], s[0:1], s[16:17]
	v_addc_co_u32_e32 v6, vcc, 0, v6, vcc
	s_andn2_b64 exec, exec, s[16:17]
	s_cbranch_execnz .LBB24_23
.LBB24_24:                              ;   in Loop: Header=BB24_16 Depth=1
	s_or_b64 exec, exec, s[4:5]
.LBB24_25:                              ;   in Loop: Header=BB24_16 Depth=1
	v_mov_b32_e32 v1, s22
	ds_read_b32 v1, v1 offset:4
	s_waitcnt lgkmcnt(0)
	v_cmp_ne_u32_e32 vcc, 0, v1
	s_cbranch_vccnz .LBB24_15
; %bb.26:                               ;   in Loop: Header=BB24_16 Depth=1
	s_or_b32 s2, s21, s20
	v_mov_b32_e32 v1, s2
	v_mov_b32_e32 v2, s3
	v_cmp_le_i64_e32 vcc, s[8:9], v[1:2]
	v_cmp_gt_i64_e64 s[0:1], s[8:9], v[1:2]
	v_mov_b32_e32 v1, 0
	v_mov_b32_e32 v3, 0
	;; [unrolled: 1-line block ×4, first 2 shown]
	s_cbranch_vccnz .LBB24_28
; %bb.27:                               ;   in Loop: Header=BB24_16 Depth=1
	s_add_u32 s4, s21, s19
	s_addc_u32 s5, 0, 0
	s_lshl_b64 s[4:5], s[4:5], 3
	s_add_u32 s4, s10, s4
	s_addc_u32 s5, s11, s5
	global_load_dwordx2 v[3:4], v7, s[4:5] offset:8
	s_waitcnt vmcnt(0)
	v_subrev_co_u32_e32 v3, vcc, s18, v3
	v_subbrev_co_u32_e32 v4, vcc, 0, v4, vcc
.LBB24_28:                              ;   in Loop: Header=BB24_16 Depth=1
	s_andn2_b64 vcc, exec, s[0:1]
	s_cbranch_vccnz .LBB24_30
; %bb.29:                               ;   in Loop: Header=BB24_16 Depth=1
	s_add_u32 s0, s21, s19
	s_addc_u32 s1, 0, 0
	s_lshl_b64 s[0:1], s[0:1], 3
	s_add_u32 s0, s12, s0
	s_addc_u32 s1, s13, s1
	global_load_dwordx2 v[1:2], v7, s[0:1] offset:8
	s_waitcnt vmcnt(0)
	v_subrev_co_u32_e32 v1, vcc, s18, v1
	v_subbrev_co_u32_e32 v2, vcc, 0, v2, vcc
.LBB24_30:                              ;   in Loop: Header=BB24_16 Depth=1
	v_add_co_u32_e32 v3, vcc, v3, v0
	v_addc_co_u32_e32 v4, vcc, 0, v4, vcc
	v_cmp_lt_i64_e32 vcc, v[3:4], v[1:2]
	s_and_saveexec_b64 s[4:5], vcc
	s_cbranch_execz .LBB24_14
; %bb.31:                               ;   in Loop: Header=BB24_16 Depth=1
	v_lshlrev_b64 v[5:6], 3, v[3:4]
	s_add_u32 s6, s2, s18
	v_mov_b32_e32 v8, s15
	v_add_co_u32_e32 v5, vcc, s14, v5
	s_addc_u32 s7, 0, 0
	v_addc_co_u32_e32 v6, vcc, v8, v6, vcc
	s_mov_b64 s[16:17], 0
.LBB24_32:                              ;   Parent Loop BB24_16 Depth=1
                                        ; =>  This Inner Loop Header: Depth=2
	v_add_co_u32_e32 v3, vcc, 0x100, v3
	v_mov_b32_e32 v9, s7
	v_addc_co_u32_e32 v4, vcc, 0, v4, vcc
	v_mov_b32_e32 v8, s6
	v_cmp_ge_i64_e64 s[0:1], v[3:4], v[1:2]
	global_store_dwordx2 v[5:6], v[8:9], off
	v_add_co_u32_e32 v5, vcc, 0x800, v5
	s_or_b64 s[16:17], s[0:1], s[16:17]
	v_addc_co_u32_e32 v6, vcc, 0, v6, vcc
	s_andn2_b64 exec, exec, s[16:17]
	s_cbranch_execnz .LBB24_32
	s_branch .LBB24_14
	.section	.rodata,"a",@progbits
	.p2align	6, 0x0
	.amdhsa_kernel _ZN9rocsparseL14csr2coo_kernelILj256ELj2EllEEvT2_PKT1_S4_PS1_21rocsparse_index_base_
		.amdhsa_group_segment_fixed_size 516
		.amdhsa_private_segment_fixed_size 0
		.amdhsa_kernarg_size 36
		.amdhsa_user_sgpr_count 6
		.amdhsa_user_sgpr_private_segment_buffer 1
		.amdhsa_user_sgpr_dispatch_ptr 0
		.amdhsa_user_sgpr_queue_ptr 0
		.amdhsa_user_sgpr_kernarg_segment_ptr 1
		.amdhsa_user_sgpr_dispatch_id 0
		.amdhsa_user_sgpr_flat_scratch_init 0
		.amdhsa_user_sgpr_private_segment_size 0
		.amdhsa_uses_dynamic_stack 0
		.amdhsa_system_sgpr_private_segment_wavefront_offset 0
		.amdhsa_system_sgpr_workgroup_id_x 1
		.amdhsa_system_sgpr_workgroup_id_y 0
		.amdhsa_system_sgpr_workgroup_id_z 0
		.amdhsa_system_sgpr_workgroup_info 0
		.amdhsa_system_vgpr_workitem_id 0
		.amdhsa_next_free_vgpr 10
		.amdhsa_next_free_sgpr 23
		.amdhsa_reserve_vcc 1
		.amdhsa_reserve_flat_scratch 0
		.amdhsa_float_round_mode_32 0
		.amdhsa_float_round_mode_16_64 0
		.amdhsa_float_denorm_mode_32 3
		.amdhsa_float_denorm_mode_16_64 3
		.amdhsa_dx10_clamp 1
		.amdhsa_ieee_mode 1
		.amdhsa_fp16_overflow 0
		.amdhsa_exception_fp_ieee_invalid_op 0
		.amdhsa_exception_fp_denorm_src 0
		.amdhsa_exception_fp_ieee_div_zero 0
		.amdhsa_exception_fp_ieee_overflow 0
		.amdhsa_exception_fp_ieee_underflow 0
		.amdhsa_exception_fp_ieee_inexact 0
		.amdhsa_exception_int_div_zero 0
	.end_amdhsa_kernel
	.section	.text._ZN9rocsparseL14csr2coo_kernelILj256ELj2EllEEvT2_PKT1_S4_PS1_21rocsparse_index_base_,"axG",@progbits,_ZN9rocsparseL14csr2coo_kernelILj256ELj2EllEEvT2_PKT1_S4_PS1_21rocsparse_index_base_,comdat
.Lfunc_end24:
	.size	_ZN9rocsparseL14csr2coo_kernelILj256ELj2EllEEvT2_PKT1_S4_PS1_21rocsparse_index_base_, .Lfunc_end24-_ZN9rocsparseL14csr2coo_kernelILj256ELj2EllEEvT2_PKT1_S4_PS1_21rocsparse_index_base_
                                        ; -- End function
	.set _ZN9rocsparseL14csr2coo_kernelILj256ELj2EllEEvT2_PKT1_S4_PS1_21rocsparse_index_base_.num_vgpr, 10
	.set _ZN9rocsparseL14csr2coo_kernelILj256ELj2EllEEvT2_PKT1_S4_PS1_21rocsparse_index_base_.num_agpr, 0
	.set _ZN9rocsparseL14csr2coo_kernelILj256ELj2EllEEvT2_PKT1_S4_PS1_21rocsparse_index_base_.numbered_sgpr, 23
	.set _ZN9rocsparseL14csr2coo_kernelILj256ELj2EllEEvT2_PKT1_S4_PS1_21rocsparse_index_base_.num_named_barrier, 0
	.set _ZN9rocsparseL14csr2coo_kernelILj256ELj2EllEEvT2_PKT1_S4_PS1_21rocsparse_index_base_.private_seg_size, 0
	.set _ZN9rocsparseL14csr2coo_kernelILj256ELj2EllEEvT2_PKT1_S4_PS1_21rocsparse_index_base_.uses_vcc, 1
	.set _ZN9rocsparseL14csr2coo_kernelILj256ELj2EllEEvT2_PKT1_S4_PS1_21rocsparse_index_base_.uses_flat_scratch, 0
	.set _ZN9rocsparseL14csr2coo_kernelILj256ELj2EllEEvT2_PKT1_S4_PS1_21rocsparse_index_base_.has_dyn_sized_stack, 0
	.set _ZN9rocsparseL14csr2coo_kernelILj256ELj2EllEEvT2_PKT1_S4_PS1_21rocsparse_index_base_.has_recursion, 0
	.set _ZN9rocsparseL14csr2coo_kernelILj256ELj2EllEEvT2_PKT1_S4_PS1_21rocsparse_index_base_.has_indirect_call, 0
	.section	.AMDGPU.csdata,"",@progbits
; Kernel info:
; codeLenInByte = 1012
; TotalNumSgprs: 27
; NumVgprs: 10
; ScratchSize: 0
; MemoryBound: 0
; FloatMode: 240
; IeeeMode: 1
; LDSByteSize: 516 bytes/workgroup (compile time only)
; SGPRBlocks: 3
; VGPRBlocks: 2
; NumSGPRsForWavesPerEU: 27
; NumVGPRsForWavesPerEU: 10
; Occupancy: 10
; WaveLimiterHint : 0
; COMPUTE_PGM_RSRC2:SCRATCH_EN: 0
; COMPUTE_PGM_RSRC2:USER_SGPR: 6
; COMPUTE_PGM_RSRC2:TRAP_HANDLER: 0
; COMPUTE_PGM_RSRC2:TGID_X_EN: 1
; COMPUTE_PGM_RSRC2:TGID_Y_EN: 0
; COMPUTE_PGM_RSRC2:TGID_Z_EN: 0
; COMPUTE_PGM_RSRC2:TIDIG_COMP_CNT: 0
	.section	.text._ZN9rocsparseL14csr2coo_kernelILj256ELj4EllEEvT2_PKT1_S4_PS1_21rocsparse_index_base_,"axG",@progbits,_ZN9rocsparseL14csr2coo_kernelILj256ELj4EllEEvT2_PKT1_S4_PS1_21rocsparse_index_base_,comdat
	.globl	_ZN9rocsparseL14csr2coo_kernelILj256ELj4EllEEvT2_PKT1_S4_PS1_21rocsparse_index_base_ ; -- Begin function _ZN9rocsparseL14csr2coo_kernelILj256ELj4EllEEvT2_PKT1_S4_PS1_21rocsparse_index_base_
	.p2align	8
	.type	_ZN9rocsparseL14csr2coo_kernelILj256ELj4EllEEvT2_PKT1_S4_PS1_21rocsparse_index_base_,@function
_ZN9rocsparseL14csr2coo_kernelILj256ELj4EllEEvT2_PKT1_S4_PS1_21rocsparse_index_base_: ; @_ZN9rocsparseL14csr2coo_kernelILj256ELj4EllEEvT2_PKT1_S4_PS1_21rocsparse_index_base_
; %bb.0:
	s_load_dwordx8 s[8:15], s[4:5], 0x0
	s_load_dword s18, s[4:5], 0x20
	v_lshrrev_b32_e32 v1, 2, v0
	s_lshl_b32 s19, s6, 6
	v_mov_b32_e32 v4, 0
	v_mov_b32_e32 v2, 1
	v_or_b32_e32 v3, s19, v1
	ds_write_b32 v4, v2 offset:256
	s_waitcnt lgkmcnt(0)
	v_cmp_gt_i64_e32 vcc, s[8:9], v[3:4]
	v_mov_b32_e32 v1, 0
	v_lshlrev_b64 v[7:8], 3, v[3:4]
	v_mov_b32_e32 v5, 0
	v_mov_b32_e32 v2, 0
	;; [unrolled: 1-line block ×3, first 2 shown]
	s_barrier
	s_and_saveexec_b64 s[2:3], vcc
	s_cbranch_execz .LBB25_2
; %bb.1:
	v_mov_b32_e32 v5, s11
	v_add_co_u32_e64 v4, s[0:1], s10, v7
	v_addc_co_u32_e64 v5, s[0:1], v5, v8, s[0:1]
	global_load_dwordx2 v[5:6], v[4:5], off
	s_waitcnt vmcnt(0)
	v_subrev_co_u32_e64 v5, s[0:1], s18, v5
	v_subbrev_co_u32_e64 v6, s[0:1], 0, v6, s[0:1]
.LBB25_2:
	s_or_b64 exec, exec, s[2:3]
	s_and_saveexec_b64 s[0:1], vcc
	s_cbranch_execz .LBB25_4
; %bb.3:
	v_mov_b32_e32 v2, s13
	v_add_co_u32_e32 v1, vcc, s12, v7
	v_addc_co_u32_e32 v2, vcc, v2, v8, vcc
	global_load_dwordx2 v[1:2], v[1:2], off
	s_waitcnt vmcnt(0)
	v_subrev_co_u32_e32 v1, vcc, s18, v1
	v_subbrev_co_u32_e32 v2, vcc, 0, v2, vcc
.LBB25_4:
	s_or_b64 exec, exec, s[0:1]
	v_sub_co_u32_e32 v7, vcc, v1, v5
	v_subb_co_u32_e32 v8, vcc, v2, v6, vcc
	v_cmp_gt_i64_e32 vcc, 33, v[7:8]
	v_cmp_lt_i64_e64 s[0:1], 32, v[7:8]
	s_and_saveexec_b64 s[2:3], s[0:1]
	s_xor_b64 s[0:1], exec, s[2:3]
; %bb.5:
	v_mov_b32_e32 v1, 0
	ds_write_b32 v1, v1 offset:256
                                        ; implicit-def: $vgpr5_vgpr6
                                        ; implicit-def: $vgpr1_vgpr2
                                        ; implicit-def: $vgpr3_vgpr4
; %bb.6:
	s_andn2_saveexec_b64 s[4:5], s[0:1]
	s_cbranch_execz .LBB25_11
; %bb.7:
	v_and_b32_e32 v4, 3, v0
	v_add_co_u32_e64 v4, s[0:1], v5, v4
	v_addc_co_u32_e64 v5, s[0:1], 0, v6, s[0:1]
	v_cmp_lt_i64_e64 s[0:1], v[4:5], v[1:2]
	s_and_saveexec_b64 s[6:7], s[0:1]
	s_cbranch_execz .LBB25_10
; %bb.8:
	v_add_co_u32_e64 v6, s[0:1], s18, v3
	v_lshlrev_b64 v[8:9], 3, v[4:5]
	v_addc_co_u32_e64 v7, s[0:1], 0, 0, s[0:1]
	v_mov_b32_e32 v3, s15
	v_add_co_u32_e64 v8, s[0:1], s14, v8
	v_addc_co_u32_e64 v9, s[0:1], v3, v9, s[0:1]
	s_mov_b64 s[16:17], 0
.LBB25_9:                               ; =>This Inner Loop Header: Depth=1
	v_add_co_u32_e64 v4, s[0:1], 4, v4
	v_addc_co_u32_e64 v5, s[0:1], 0, v5, s[0:1]
	v_cmp_ge_i64_e64 s[2:3], v[4:5], v[1:2]
	global_store_dwordx2 v[8:9], v[6:7], off
	v_add_co_u32_e64 v8, s[0:1], 32, v8
	s_or_b64 s[16:17], s[2:3], s[16:17]
	v_addc_co_u32_e64 v9, s[0:1], 0, v9, s[0:1]
	s_andn2_b64 exec, exec, s[16:17]
	s_cbranch_execnz .LBB25_9
.LBB25_10:
	s_or_b64 exec, exec, s[6:7]
.LBB25_11:
	s_or_b64 exec, exec, s[4:5]
	v_cndmask_b32_e64 v1, 0, 1, vcc
	v_and_b32_e32 v2, 0xfc, v0
	v_mov_b32_e32 v7, 0
	ds_write_b32 v2, v1
	s_waitcnt vmcnt(0) lgkmcnt(0)
	s_barrier
	ds_read_b32 v1, v7 offset:256
	s_mov_b32 s3, 0
	s_waitcnt lgkmcnt(0)
	v_cmp_ne_u32_e32 vcc, 0, v1
	s_cbranch_vccz .LBB25_13
.LBB25_12:
	s_endpgm
.LBB25_13:
	s_or_b32 s20, s19, 1
	s_mov_b32 s21, 0
	s_branch .LBB25_16
.LBB25_14:                              ;   in Loop: Header=BB25_16 Depth=1
	s_or_b64 exec, exec, s[4:5]
.LBB25_15:                              ;   in Loop: Header=BB25_16 Depth=1
	s_add_i32 s21, s21, 2
	s_cmp_lg_u32 s21, 64
	s_cbranch_scc0 .LBB25_12
.LBB25_16:                              ; =>This Loop Header: Depth=1
                                        ;     Child Loop BB25_23 Depth 2
                                        ;     Child Loop BB25_32 Depth 2
	s_lshl_b32 s22, s21, 2
	v_mov_b32_e32 v1, s22
	ds_read_b32 v1, v1
	s_waitcnt lgkmcnt(0)
	v_cmp_ne_u32_e32 vcc, 0, v1
	s_cbranch_vccnz .LBB25_25
; %bb.17:                               ;   in Loop: Header=BB25_16 Depth=1
	s_or_b32 s2, s21, s19
	v_mov_b32_e32 v1, s2
	v_mov_b32_e32 v2, s3
	v_cmp_le_i64_e32 vcc, s[8:9], v[1:2]
	v_cmp_gt_i64_e64 s[0:1], s[8:9], v[1:2]
	v_mov_b32_e32 v1, 0
	v_mov_b32_e32 v3, 0
	;; [unrolled: 1-line block ×4, first 2 shown]
	s_cbranch_vccnz .LBB25_19
; %bb.18:                               ;   in Loop: Header=BB25_16 Depth=1
	s_lshl_b64 s[4:5], s[2:3], 3
	s_add_u32 s4, s10, s4
	s_addc_u32 s5, s11, s5
	global_load_dwordx2 v[3:4], v7, s[4:5]
	s_waitcnt vmcnt(0)
	v_subrev_co_u32_e32 v3, vcc, s18, v3
	v_subbrev_co_u32_e32 v4, vcc, 0, v4, vcc
.LBB25_19:                              ;   in Loop: Header=BB25_16 Depth=1
	s_andn2_b64 vcc, exec, s[0:1]
	s_cbranch_vccnz .LBB25_21
; %bb.20:                               ;   in Loop: Header=BB25_16 Depth=1
	s_lshl_b64 s[0:1], s[2:3], 3
	s_add_u32 s0, s12, s0
	s_addc_u32 s1, s13, s1
	global_load_dwordx2 v[1:2], v7, s[0:1]
	s_waitcnt vmcnt(0)
	v_subrev_co_u32_e32 v1, vcc, s18, v1
	v_subbrev_co_u32_e32 v2, vcc, 0, v2, vcc
.LBB25_21:                              ;   in Loop: Header=BB25_16 Depth=1
	v_add_co_u32_e32 v3, vcc, v3, v0
	v_addc_co_u32_e32 v4, vcc, 0, v4, vcc
	v_cmp_lt_i64_e32 vcc, v[3:4], v[1:2]
	s_and_saveexec_b64 s[4:5], vcc
	s_cbranch_execz .LBB25_24
; %bb.22:                               ;   in Loop: Header=BB25_16 Depth=1
	v_lshlrev_b64 v[5:6], 3, v[3:4]
	s_add_u32 s6, s2, s18
	v_mov_b32_e32 v8, s15
	v_add_co_u32_e32 v5, vcc, s14, v5
	s_addc_u32 s7, 0, 0
	v_addc_co_u32_e32 v6, vcc, v8, v6, vcc
	s_mov_b64 s[16:17], 0
.LBB25_23:                              ;   Parent Loop BB25_16 Depth=1
                                        ; =>  This Inner Loop Header: Depth=2
	v_add_co_u32_e32 v3, vcc, 0x100, v3
	v_mov_b32_e32 v9, s7
	v_addc_co_u32_e32 v4, vcc, 0, v4, vcc
	v_mov_b32_e32 v8, s6
	v_cmp_ge_i64_e64 s[0:1], v[3:4], v[1:2]
	global_store_dwordx2 v[5:6], v[8:9], off
	v_add_co_u32_e32 v5, vcc, 0x800, v5
	s_or_b64 s[16:17], s[0:1], s[16:17]
	v_addc_co_u32_e32 v6, vcc, 0, v6, vcc
	s_andn2_b64 exec, exec, s[16:17]
	s_cbranch_execnz .LBB25_23
.LBB25_24:                              ;   in Loop: Header=BB25_16 Depth=1
	s_or_b64 exec, exec, s[4:5]
.LBB25_25:                              ;   in Loop: Header=BB25_16 Depth=1
	v_mov_b32_e32 v1, s22
	ds_read_b32 v1, v1 offset:4
	s_waitcnt lgkmcnt(0)
	v_cmp_ne_u32_e32 vcc, 0, v1
	s_cbranch_vccnz .LBB25_15
; %bb.26:                               ;   in Loop: Header=BB25_16 Depth=1
	s_or_b32 s2, s21, s20
	v_mov_b32_e32 v1, s2
	v_mov_b32_e32 v2, s3
	v_cmp_le_i64_e32 vcc, s[8:9], v[1:2]
	v_cmp_gt_i64_e64 s[0:1], s[8:9], v[1:2]
	v_mov_b32_e32 v1, 0
	v_mov_b32_e32 v3, 0
	;; [unrolled: 1-line block ×4, first 2 shown]
	s_cbranch_vccnz .LBB25_28
; %bb.27:                               ;   in Loop: Header=BB25_16 Depth=1
	s_add_u32 s4, s21, s19
	s_addc_u32 s5, 0, 0
	s_lshl_b64 s[4:5], s[4:5], 3
	s_add_u32 s4, s10, s4
	s_addc_u32 s5, s11, s5
	global_load_dwordx2 v[3:4], v7, s[4:5] offset:8
	s_waitcnt vmcnt(0)
	v_subrev_co_u32_e32 v3, vcc, s18, v3
	v_subbrev_co_u32_e32 v4, vcc, 0, v4, vcc
.LBB25_28:                              ;   in Loop: Header=BB25_16 Depth=1
	s_andn2_b64 vcc, exec, s[0:1]
	s_cbranch_vccnz .LBB25_30
; %bb.29:                               ;   in Loop: Header=BB25_16 Depth=1
	s_add_u32 s0, s21, s19
	s_addc_u32 s1, 0, 0
	s_lshl_b64 s[0:1], s[0:1], 3
	s_add_u32 s0, s12, s0
	s_addc_u32 s1, s13, s1
	global_load_dwordx2 v[1:2], v7, s[0:1] offset:8
	s_waitcnt vmcnt(0)
	v_subrev_co_u32_e32 v1, vcc, s18, v1
	v_subbrev_co_u32_e32 v2, vcc, 0, v2, vcc
.LBB25_30:                              ;   in Loop: Header=BB25_16 Depth=1
	v_add_co_u32_e32 v3, vcc, v3, v0
	v_addc_co_u32_e32 v4, vcc, 0, v4, vcc
	v_cmp_lt_i64_e32 vcc, v[3:4], v[1:2]
	s_and_saveexec_b64 s[4:5], vcc
	s_cbranch_execz .LBB25_14
; %bb.31:                               ;   in Loop: Header=BB25_16 Depth=1
	v_lshlrev_b64 v[5:6], 3, v[3:4]
	s_add_u32 s6, s2, s18
	v_mov_b32_e32 v8, s15
	v_add_co_u32_e32 v5, vcc, s14, v5
	s_addc_u32 s7, 0, 0
	v_addc_co_u32_e32 v6, vcc, v8, v6, vcc
	s_mov_b64 s[16:17], 0
.LBB25_32:                              ;   Parent Loop BB25_16 Depth=1
                                        ; =>  This Inner Loop Header: Depth=2
	v_add_co_u32_e32 v3, vcc, 0x100, v3
	v_mov_b32_e32 v9, s7
	v_addc_co_u32_e32 v4, vcc, 0, v4, vcc
	v_mov_b32_e32 v8, s6
	v_cmp_ge_i64_e64 s[0:1], v[3:4], v[1:2]
	global_store_dwordx2 v[5:6], v[8:9], off
	v_add_co_u32_e32 v5, vcc, 0x800, v5
	s_or_b64 s[16:17], s[0:1], s[16:17]
	v_addc_co_u32_e32 v6, vcc, 0, v6, vcc
	s_andn2_b64 exec, exec, s[16:17]
	s_cbranch_execnz .LBB25_32
	s_branch .LBB25_14
	.section	.rodata,"a",@progbits
	.p2align	6, 0x0
	.amdhsa_kernel _ZN9rocsparseL14csr2coo_kernelILj256ELj4EllEEvT2_PKT1_S4_PS1_21rocsparse_index_base_
		.amdhsa_group_segment_fixed_size 260
		.amdhsa_private_segment_fixed_size 0
		.amdhsa_kernarg_size 36
		.amdhsa_user_sgpr_count 6
		.amdhsa_user_sgpr_private_segment_buffer 1
		.amdhsa_user_sgpr_dispatch_ptr 0
		.amdhsa_user_sgpr_queue_ptr 0
		.amdhsa_user_sgpr_kernarg_segment_ptr 1
		.amdhsa_user_sgpr_dispatch_id 0
		.amdhsa_user_sgpr_flat_scratch_init 0
		.amdhsa_user_sgpr_private_segment_size 0
		.amdhsa_uses_dynamic_stack 0
		.amdhsa_system_sgpr_private_segment_wavefront_offset 0
		.amdhsa_system_sgpr_workgroup_id_x 1
		.amdhsa_system_sgpr_workgroup_id_y 0
		.amdhsa_system_sgpr_workgroup_id_z 0
		.amdhsa_system_sgpr_workgroup_info 0
		.amdhsa_system_vgpr_workitem_id 0
		.amdhsa_next_free_vgpr 10
		.amdhsa_next_free_sgpr 23
		.amdhsa_reserve_vcc 1
		.amdhsa_reserve_flat_scratch 0
		.amdhsa_float_round_mode_32 0
		.amdhsa_float_round_mode_16_64 0
		.amdhsa_float_denorm_mode_32 3
		.amdhsa_float_denorm_mode_16_64 3
		.amdhsa_dx10_clamp 1
		.amdhsa_ieee_mode 1
		.amdhsa_fp16_overflow 0
		.amdhsa_exception_fp_ieee_invalid_op 0
		.amdhsa_exception_fp_denorm_src 0
		.amdhsa_exception_fp_ieee_div_zero 0
		.amdhsa_exception_fp_ieee_overflow 0
		.amdhsa_exception_fp_ieee_underflow 0
		.amdhsa_exception_fp_ieee_inexact 0
		.amdhsa_exception_int_div_zero 0
	.end_amdhsa_kernel
	.section	.text._ZN9rocsparseL14csr2coo_kernelILj256ELj4EllEEvT2_PKT1_S4_PS1_21rocsparse_index_base_,"axG",@progbits,_ZN9rocsparseL14csr2coo_kernelILj256ELj4EllEEvT2_PKT1_S4_PS1_21rocsparse_index_base_,comdat
.Lfunc_end25:
	.size	_ZN9rocsparseL14csr2coo_kernelILj256ELj4EllEEvT2_PKT1_S4_PS1_21rocsparse_index_base_, .Lfunc_end25-_ZN9rocsparseL14csr2coo_kernelILj256ELj4EllEEvT2_PKT1_S4_PS1_21rocsparse_index_base_
                                        ; -- End function
	.set _ZN9rocsparseL14csr2coo_kernelILj256ELj4EllEEvT2_PKT1_S4_PS1_21rocsparse_index_base_.num_vgpr, 10
	.set _ZN9rocsparseL14csr2coo_kernelILj256ELj4EllEEvT2_PKT1_S4_PS1_21rocsparse_index_base_.num_agpr, 0
	.set _ZN9rocsparseL14csr2coo_kernelILj256ELj4EllEEvT2_PKT1_S4_PS1_21rocsparse_index_base_.numbered_sgpr, 23
	.set _ZN9rocsparseL14csr2coo_kernelILj256ELj4EllEEvT2_PKT1_S4_PS1_21rocsparse_index_base_.num_named_barrier, 0
	.set _ZN9rocsparseL14csr2coo_kernelILj256ELj4EllEEvT2_PKT1_S4_PS1_21rocsparse_index_base_.private_seg_size, 0
	.set _ZN9rocsparseL14csr2coo_kernelILj256ELj4EllEEvT2_PKT1_S4_PS1_21rocsparse_index_base_.uses_vcc, 1
	.set _ZN9rocsparseL14csr2coo_kernelILj256ELj4EllEEvT2_PKT1_S4_PS1_21rocsparse_index_base_.uses_flat_scratch, 0
	.set _ZN9rocsparseL14csr2coo_kernelILj256ELj4EllEEvT2_PKT1_S4_PS1_21rocsparse_index_base_.has_dyn_sized_stack, 0
	.set _ZN9rocsparseL14csr2coo_kernelILj256ELj4EllEEvT2_PKT1_S4_PS1_21rocsparse_index_base_.has_recursion, 0
	.set _ZN9rocsparseL14csr2coo_kernelILj256ELj4EllEEvT2_PKT1_S4_PS1_21rocsparse_index_base_.has_indirect_call, 0
	.section	.AMDGPU.csdata,"",@progbits
; Kernel info:
; codeLenInByte = 1008
; TotalNumSgprs: 27
; NumVgprs: 10
; ScratchSize: 0
; MemoryBound: 0
; FloatMode: 240
; IeeeMode: 1
; LDSByteSize: 260 bytes/workgroup (compile time only)
; SGPRBlocks: 3
; VGPRBlocks: 2
; NumSGPRsForWavesPerEU: 27
; NumVGPRsForWavesPerEU: 10
; Occupancy: 10
; WaveLimiterHint : 0
; COMPUTE_PGM_RSRC2:SCRATCH_EN: 0
; COMPUTE_PGM_RSRC2:USER_SGPR: 6
; COMPUTE_PGM_RSRC2:TRAP_HANDLER: 0
; COMPUTE_PGM_RSRC2:TGID_X_EN: 1
; COMPUTE_PGM_RSRC2:TGID_Y_EN: 0
; COMPUTE_PGM_RSRC2:TGID_Z_EN: 0
; COMPUTE_PGM_RSRC2:TIDIG_COMP_CNT: 0
	.section	.text._ZN9rocsparseL14csr2coo_kernelILj256ELj8EllEEvT2_PKT1_S4_PS1_21rocsparse_index_base_,"axG",@progbits,_ZN9rocsparseL14csr2coo_kernelILj256ELj8EllEEvT2_PKT1_S4_PS1_21rocsparse_index_base_,comdat
	.globl	_ZN9rocsparseL14csr2coo_kernelILj256ELj8EllEEvT2_PKT1_S4_PS1_21rocsparse_index_base_ ; -- Begin function _ZN9rocsparseL14csr2coo_kernelILj256ELj8EllEEvT2_PKT1_S4_PS1_21rocsparse_index_base_
	.p2align	8
	.type	_ZN9rocsparseL14csr2coo_kernelILj256ELj8EllEEvT2_PKT1_S4_PS1_21rocsparse_index_base_,@function
_ZN9rocsparseL14csr2coo_kernelILj256ELj8EllEEvT2_PKT1_S4_PS1_21rocsparse_index_base_: ; @_ZN9rocsparseL14csr2coo_kernelILj256ELj8EllEEvT2_PKT1_S4_PS1_21rocsparse_index_base_
; %bb.0:
	s_load_dwordx8 s[8:15], s[4:5], 0x0
	s_load_dword s18, s[4:5], 0x20
	v_lshrrev_b32_e32 v1, 3, v0
	s_lshl_b32 s19, s6, 5
	v_mov_b32_e32 v4, 0
	v_mov_b32_e32 v2, 1
	v_or_b32_e32 v3, s19, v1
	ds_write_b32 v4, v2 offset:128
	s_waitcnt lgkmcnt(0)
	v_cmp_gt_i64_e32 vcc, s[8:9], v[3:4]
	v_mov_b32_e32 v1, 0
	v_lshlrev_b64 v[7:8], 3, v[3:4]
	v_mov_b32_e32 v5, 0
	v_mov_b32_e32 v2, 0
	;; [unrolled: 1-line block ×3, first 2 shown]
	s_barrier
	s_and_saveexec_b64 s[2:3], vcc
	s_cbranch_execz .LBB26_2
; %bb.1:
	v_mov_b32_e32 v5, s11
	v_add_co_u32_e64 v4, s[0:1], s10, v7
	v_addc_co_u32_e64 v5, s[0:1], v5, v8, s[0:1]
	global_load_dwordx2 v[5:6], v[4:5], off
	s_waitcnt vmcnt(0)
	v_subrev_co_u32_e64 v5, s[0:1], s18, v5
	v_subbrev_co_u32_e64 v6, s[0:1], 0, v6, s[0:1]
.LBB26_2:
	s_or_b64 exec, exec, s[2:3]
	s_and_saveexec_b64 s[0:1], vcc
	s_cbranch_execz .LBB26_4
; %bb.3:
	v_mov_b32_e32 v2, s13
	v_add_co_u32_e32 v1, vcc, s12, v7
	v_addc_co_u32_e32 v2, vcc, v2, v8, vcc
	global_load_dwordx2 v[1:2], v[1:2], off
	s_waitcnt vmcnt(0)
	v_subrev_co_u32_e32 v1, vcc, s18, v1
	v_subbrev_co_u32_e32 v2, vcc, 0, v2, vcc
.LBB26_4:
	s_or_b64 exec, exec, s[0:1]
	v_sub_co_u32_e32 v7, vcc, v1, v5
	v_subb_co_u32_e32 v8, vcc, v2, v6, vcc
	s_mov_b64 s[0:1], 0x41
	v_cmp_gt_i64_e32 vcc, s[0:1], v[7:8]
	v_cmp_lt_i64_e64 s[0:1], 64, v[7:8]
	s_and_saveexec_b64 s[2:3], s[0:1]
	s_xor_b64 s[0:1], exec, s[2:3]
; %bb.5:
	v_mov_b32_e32 v1, 0
	ds_write_b32 v1, v1 offset:128
                                        ; implicit-def: $vgpr5_vgpr6
                                        ; implicit-def: $vgpr1_vgpr2
                                        ; implicit-def: $vgpr3_vgpr4
; %bb.6:
	s_andn2_saveexec_b64 s[4:5], s[0:1]
	s_cbranch_execz .LBB26_11
; %bb.7:
	v_and_b32_e32 v4, 7, v0
	v_add_co_u32_e64 v4, s[0:1], v5, v4
	v_addc_co_u32_e64 v5, s[0:1], 0, v6, s[0:1]
	v_cmp_lt_i64_e64 s[0:1], v[4:5], v[1:2]
	s_and_saveexec_b64 s[6:7], s[0:1]
	s_cbranch_execz .LBB26_10
; %bb.8:
	v_add_co_u32_e64 v6, s[0:1], s18, v3
	v_lshlrev_b64 v[8:9], 3, v[4:5]
	v_addc_co_u32_e64 v7, s[0:1], 0, 0, s[0:1]
	v_mov_b32_e32 v3, s15
	v_add_co_u32_e64 v8, s[0:1], s14, v8
	v_addc_co_u32_e64 v9, s[0:1], v3, v9, s[0:1]
	s_mov_b64 s[16:17], 0
.LBB26_9:                               ; =>This Inner Loop Header: Depth=1
	v_add_co_u32_e64 v4, s[0:1], 8, v4
	v_addc_co_u32_e64 v5, s[0:1], 0, v5, s[0:1]
	v_cmp_ge_i64_e64 s[2:3], v[4:5], v[1:2]
	global_store_dwordx2 v[8:9], v[6:7], off
	v_add_co_u32_e64 v8, s[0:1], 64, v8
	s_or_b64 s[16:17], s[2:3], s[16:17]
	v_addc_co_u32_e64 v9, s[0:1], 0, v9, s[0:1]
	s_andn2_b64 exec, exec, s[16:17]
	s_cbranch_execnz .LBB26_9
.LBB26_10:
	s_or_b64 exec, exec, s[6:7]
.LBB26_11:
	s_or_b64 exec, exec, s[4:5]
	v_lshrrev_b32_e32 v2, 1, v0
	v_cndmask_b32_e64 v1, 0, 1, vcc
	v_and_b32_e32 v2, 0x7c, v2
	v_mov_b32_e32 v7, 0
	ds_write_b32 v2, v1
	s_waitcnt vmcnt(0) lgkmcnt(0)
	s_barrier
	ds_read_b32 v1, v7 offset:128
	s_mov_b32 s3, 0
	s_waitcnt lgkmcnt(0)
	v_cmp_ne_u32_e32 vcc, 0, v1
	s_cbranch_vccz .LBB26_13
.LBB26_12:
	s_endpgm
.LBB26_13:
	s_or_b32 s20, s19, 1
	s_mov_b32 s21, 0
	s_branch .LBB26_16
.LBB26_14:                              ;   in Loop: Header=BB26_16 Depth=1
	s_or_b64 exec, exec, s[4:5]
.LBB26_15:                              ;   in Loop: Header=BB26_16 Depth=1
	s_add_i32 s21, s21, 2
	s_cmp_lg_u32 s21, 32
	s_cbranch_scc0 .LBB26_12
.LBB26_16:                              ; =>This Loop Header: Depth=1
                                        ;     Child Loop BB26_23 Depth 2
                                        ;     Child Loop BB26_32 Depth 2
	s_lshl_b32 s22, s21, 2
	v_mov_b32_e32 v1, s22
	ds_read_b32 v1, v1
	s_waitcnt lgkmcnt(0)
	v_cmp_ne_u32_e32 vcc, 0, v1
	s_cbranch_vccnz .LBB26_25
; %bb.17:                               ;   in Loop: Header=BB26_16 Depth=1
	s_or_b32 s2, s21, s19
	v_mov_b32_e32 v1, s2
	v_mov_b32_e32 v2, s3
	v_cmp_le_i64_e32 vcc, s[8:9], v[1:2]
	v_cmp_gt_i64_e64 s[0:1], s[8:9], v[1:2]
	v_mov_b32_e32 v1, 0
	v_mov_b32_e32 v3, 0
	;; [unrolled: 1-line block ×4, first 2 shown]
	s_cbranch_vccnz .LBB26_19
; %bb.18:                               ;   in Loop: Header=BB26_16 Depth=1
	s_lshl_b64 s[4:5], s[2:3], 3
	s_add_u32 s4, s10, s4
	s_addc_u32 s5, s11, s5
	global_load_dwordx2 v[3:4], v7, s[4:5]
	s_waitcnt vmcnt(0)
	v_subrev_co_u32_e32 v3, vcc, s18, v3
	v_subbrev_co_u32_e32 v4, vcc, 0, v4, vcc
.LBB26_19:                              ;   in Loop: Header=BB26_16 Depth=1
	s_andn2_b64 vcc, exec, s[0:1]
	s_cbranch_vccnz .LBB26_21
; %bb.20:                               ;   in Loop: Header=BB26_16 Depth=1
	s_lshl_b64 s[0:1], s[2:3], 3
	s_add_u32 s0, s12, s0
	s_addc_u32 s1, s13, s1
	global_load_dwordx2 v[1:2], v7, s[0:1]
	s_waitcnt vmcnt(0)
	v_subrev_co_u32_e32 v1, vcc, s18, v1
	v_subbrev_co_u32_e32 v2, vcc, 0, v2, vcc
.LBB26_21:                              ;   in Loop: Header=BB26_16 Depth=1
	v_add_co_u32_e32 v3, vcc, v3, v0
	v_addc_co_u32_e32 v4, vcc, 0, v4, vcc
	v_cmp_lt_i64_e32 vcc, v[3:4], v[1:2]
	s_and_saveexec_b64 s[4:5], vcc
	s_cbranch_execz .LBB26_24
; %bb.22:                               ;   in Loop: Header=BB26_16 Depth=1
	v_lshlrev_b64 v[5:6], 3, v[3:4]
	s_add_u32 s6, s2, s18
	v_mov_b32_e32 v8, s15
	v_add_co_u32_e32 v5, vcc, s14, v5
	s_addc_u32 s7, 0, 0
	v_addc_co_u32_e32 v6, vcc, v8, v6, vcc
	s_mov_b64 s[16:17], 0
.LBB26_23:                              ;   Parent Loop BB26_16 Depth=1
                                        ; =>  This Inner Loop Header: Depth=2
	v_add_co_u32_e32 v3, vcc, 0x100, v3
	v_mov_b32_e32 v9, s7
	v_addc_co_u32_e32 v4, vcc, 0, v4, vcc
	v_mov_b32_e32 v8, s6
	v_cmp_ge_i64_e64 s[0:1], v[3:4], v[1:2]
	global_store_dwordx2 v[5:6], v[8:9], off
	v_add_co_u32_e32 v5, vcc, 0x800, v5
	s_or_b64 s[16:17], s[0:1], s[16:17]
	v_addc_co_u32_e32 v6, vcc, 0, v6, vcc
	s_andn2_b64 exec, exec, s[16:17]
	s_cbranch_execnz .LBB26_23
.LBB26_24:                              ;   in Loop: Header=BB26_16 Depth=1
	s_or_b64 exec, exec, s[4:5]
.LBB26_25:                              ;   in Loop: Header=BB26_16 Depth=1
	v_mov_b32_e32 v1, s22
	ds_read_b32 v1, v1 offset:4
	s_waitcnt lgkmcnt(0)
	v_cmp_ne_u32_e32 vcc, 0, v1
	s_cbranch_vccnz .LBB26_15
; %bb.26:                               ;   in Loop: Header=BB26_16 Depth=1
	s_or_b32 s2, s21, s20
	v_mov_b32_e32 v1, s2
	v_mov_b32_e32 v2, s3
	v_cmp_le_i64_e32 vcc, s[8:9], v[1:2]
	v_cmp_gt_i64_e64 s[0:1], s[8:9], v[1:2]
	v_mov_b32_e32 v1, 0
	v_mov_b32_e32 v3, 0
	;; [unrolled: 1-line block ×4, first 2 shown]
	s_cbranch_vccnz .LBB26_28
; %bb.27:                               ;   in Loop: Header=BB26_16 Depth=1
	s_add_u32 s4, s21, s19
	s_addc_u32 s5, 0, 0
	s_lshl_b64 s[4:5], s[4:5], 3
	s_add_u32 s4, s10, s4
	s_addc_u32 s5, s11, s5
	global_load_dwordx2 v[3:4], v7, s[4:5] offset:8
	s_waitcnt vmcnt(0)
	v_subrev_co_u32_e32 v3, vcc, s18, v3
	v_subbrev_co_u32_e32 v4, vcc, 0, v4, vcc
.LBB26_28:                              ;   in Loop: Header=BB26_16 Depth=1
	s_andn2_b64 vcc, exec, s[0:1]
	s_cbranch_vccnz .LBB26_30
; %bb.29:                               ;   in Loop: Header=BB26_16 Depth=1
	s_add_u32 s0, s21, s19
	s_addc_u32 s1, 0, 0
	s_lshl_b64 s[0:1], s[0:1], 3
	s_add_u32 s0, s12, s0
	s_addc_u32 s1, s13, s1
	global_load_dwordx2 v[1:2], v7, s[0:1] offset:8
	s_waitcnt vmcnt(0)
	v_subrev_co_u32_e32 v1, vcc, s18, v1
	v_subbrev_co_u32_e32 v2, vcc, 0, v2, vcc
.LBB26_30:                              ;   in Loop: Header=BB26_16 Depth=1
	v_add_co_u32_e32 v3, vcc, v3, v0
	v_addc_co_u32_e32 v4, vcc, 0, v4, vcc
	v_cmp_lt_i64_e32 vcc, v[3:4], v[1:2]
	s_and_saveexec_b64 s[4:5], vcc
	s_cbranch_execz .LBB26_14
; %bb.31:                               ;   in Loop: Header=BB26_16 Depth=1
	v_lshlrev_b64 v[5:6], 3, v[3:4]
	s_add_u32 s6, s2, s18
	v_mov_b32_e32 v8, s15
	v_add_co_u32_e32 v5, vcc, s14, v5
	s_addc_u32 s7, 0, 0
	v_addc_co_u32_e32 v6, vcc, v8, v6, vcc
	s_mov_b64 s[16:17], 0
.LBB26_32:                              ;   Parent Loop BB26_16 Depth=1
                                        ; =>  This Inner Loop Header: Depth=2
	v_add_co_u32_e32 v3, vcc, 0x100, v3
	v_mov_b32_e32 v9, s7
	v_addc_co_u32_e32 v4, vcc, 0, v4, vcc
	v_mov_b32_e32 v8, s6
	v_cmp_ge_i64_e64 s[0:1], v[3:4], v[1:2]
	global_store_dwordx2 v[5:6], v[8:9], off
	v_add_co_u32_e32 v5, vcc, 0x800, v5
	s_or_b64 s[16:17], s[0:1], s[16:17]
	v_addc_co_u32_e32 v6, vcc, 0, v6, vcc
	s_andn2_b64 exec, exec, s[16:17]
	s_cbranch_execnz .LBB26_32
	s_branch .LBB26_14
	.section	.rodata,"a",@progbits
	.p2align	6, 0x0
	.amdhsa_kernel _ZN9rocsparseL14csr2coo_kernelILj256ELj8EllEEvT2_PKT1_S4_PS1_21rocsparse_index_base_
		.amdhsa_group_segment_fixed_size 132
		.amdhsa_private_segment_fixed_size 0
		.amdhsa_kernarg_size 36
		.amdhsa_user_sgpr_count 6
		.amdhsa_user_sgpr_private_segment_buffer 1
		.amdhsa_user_sgpr_dispatch_ptr 0
		.amdhsa_user_sgpr_queue_ptr 0
		.amdhsa_user_sgpr_kernarg_segment_ptr 1
		.amdhsa_user_sgpr_dispatch_id 0
		.amdhsa_user_sgpr_flat_scratch_init 0
		.amdhsa_user_sgpr_private_segment_size 0
		.amdhsa_uses_dynamic_stack 0
		.amdhsa_system_sgpr_private_segment_wavefront_offset 0
		.amdhsa_system_sgpr_workgroup_id_x 1
		.amdhsa_system_sgpr_workgroup_id_y 0
		.amdhsa_system_sgpr_workgroup_id_z 0
		.amdhsa_system_sgpr_workgroup_info 0
		.amdhsa_system_vgpr_workitem_id 0
		.amdhsa_next_free_vgpr 10
		.amdhsa_next_free_sgpr 23
		.amdhsa_reserve_vcc 1
		.amdhsa_reserve_flat_scratch 0
		.amdhsa_float_round_mode_32 0
		.amdhsa_float_round_mode_16_64 0
		.amdhsa_float_denorm_mode_32 3
		.amdhsa_float_denorm_mode_16_64 3
		.amdhsa_dx10_clamp 1
		.amdhsa_ieee_mode 1
		.amdhsa_fp16_overflow 0
		.amdhsa_exception_fp_ieee_invalid_op 0
		.amdhsa_exception_fp_denorm_src 0
		.amdhsa_exception_fp_ieee_div_zero 0
		.amdhsa_exception_fp_ieee_overflow 0
		.amdhsa_exception_fp_ieee_underflow 0
		.amdhsa_exception_fp_ieee_inexact 0
		.amdhsa_exception_int_div_zero 0
	.end_amdhsa_kernel
	.section	.text._ZN9rocsparseL14csr2coo_kernelILj256ELj8EllEEvT2_PKT1_S4_PS1_21rocsparse_index_base_,"axG",@progbits,_ZN9rocsparseL14csr2coo_kernelILj256ELj8EllEEvT2_PKT1_S4_PS1_21rocsparse_index_base_,comdat
.Lfunc_end26:
	.size	_ZN9rocsparseL14csr2coo_kernelILj256ELj8EllEEvT2_PKT1_S4_PS1_21rocsparse_index_base_, .Lfunc_end26-_ZN9rocsparseL14csr2coo_kernelILj256ELj8EllEEvT2_PKT1_S4_PS1_21rocsparse_index_base_
                                        ; -- End function
	.set _ZN9rocsparseL14csr2coo_kernelILj256ELj8EllEEvT2_PKT1_S4_PS1_21rocsparse_index_base_.num_vgpr, 10
	.set _ZN9rocsparseL14csr2coo_kernelILj256ELj8EllEEvT2_PKT1_S4_PS1_21rocsparse_index_base_.num_agpr, 0
	.set _ZN9rocsparseL14csr2coo_kernelILj256ELj8EllEEvT2_PKT1_S4_PS1_21rocsparse_index_base_.numbered_sgpr, 23
	.set _ZN9rocsparseL14csr2coo_kernelILj256ELj8EllEEvT2_PKT1_S4_PS1_21rocsparse_index_base_.num_named_barrier, 0
	.set _ZN9rocsparseL14csr2coo_kernelILj256ELj8EllEEvT2_PKT1_S4_PS1_21rocsparse_index_base_.private_seg_size, 0
	.set _ZN9rocsparseL14csr2coo_kernelILj256ELj8EllEEvT2_PKT1_S4_PS1_21rocsparse_index_base_.uses_vcc, 1
	.set _ZN9rocsparseL14csr2coo_kernelILj256ELj8EllEEvT2_PKT1_S4_PS1_21rocsparse_index_base_.uses_flat_scratch, 0
	.set _ZN9rocsparseL14csr2coo_kernelILj256ELj8EllEEvT2_PKT1_S4_PS1_21rocsparse_index_base_.has_dyn_sized_stack, 0
	.set _ZN9rocsparseL14csr2coo_kernelILj256ELj8EllEEvT2_PKT1_S4_PS1_21rocsparse_index_base_.has_recursion, 0
	.set _ZN9rocsparseL14csr2coo_kernelILj256ELj8EllEEvT2_PKT1_S4_PS1_21rocsparse_index_base_.has_indirect_call, 0
	.section	.AMDGPU.csdata,"",@progbits
; Kernel info:
; codeLenInByte = 1020
; TotalNumSgprs: 27
; NumVgprs: 10
; ScratchSize: 0
; MemoryBound: 0
; FloatMode: 240
; IeeeMode: 1
; LDSByteSize: 132 bytes/workgroup (compile time only)
; SGPRBlocks: 3
; VGPRBlocks: 2
; NumSGPRsForWavesPerEU: 27
; NumVGPRsForWavesPerEU: 10
; Occupancy: 10
; WaveLimiterHint : 0
; COMPUTE_PGM_RSRC2:SCRATCH_EN: 0
; COMPUTE_PGM_RSRC2:USER_SGPR: 6
; COMPUTE_PGM_RSRC2:TRAP_HANDLER: 0
; COMPUTE_PGM_RSRC2:TGID_X_EN: 1
; COMPUTE_PGM_RSRC2:TGID_Y_EN: 0
; COMPUTE_PGM_RSRC2:TGID_Z_EN: 0
; COMPUTE_PGM_RSRC2:TIDIG_COMP_CNT: 0
	.section	.text._ZN9rocsparseL14csr2coo_kernelILj256ELj16EllEEvT2_PKT1_S4_PS1_21rocsparse_index_base_,"axG",@progbits,_ZN9rocsparseL14csr2coo_kernelILj256ELj16EllEEvT2_PKT1_S4_PS1_21rocsparse_index_base_,comdat
	.globl	_ZN9rocsparseL14csr2coo_kernelILj256ELj16EllEEvT2_PKT1_S4_PS1_21rocsparse_index_base_ ; -- Begin function _ZN9rocsparseL14csr2coo_kernelILj256ELj16EllEEvT2_PKT1_S4_PS1_21rocsparse_index_base_
	.p2align	8
	.type	_ZN9rocsparseL14csr2coo_kernelILj256ELj16EllEEvT2_PKT1_S4_PS1_21rocsparse_index_base_,@function
_ZN9rocsparseL14csr2coo_kernelILj256ELj16EllEEvT2_PKT1_S4_PS1_21rocsparse_index_base_: ; @_ZN9rocsparseL14csr2coo_kernelILj256ELj16EllEEvT2_PKT1_S4_PS1_21rocsparse_index_base_
; %bb.0:
	s_load_dwordx8 s[8:15], s[4:5], 0x0
	s_load_dword s20, s[4:5], 0x20
	v_lshrrev_b32_e32 v1, 4, v0
	s_lshl_b32 s4, s6, 4
	v_mov_b32_e32 v4, 0
	v_mov_b32_e32 v2, 1
	v_or_b32_e32 v3, s4, v1
	ds_write_b32 v4, v2 offset:64
	s_waitcnt lgkmcnt(0)
	v_cmp_gt_i64_e32 vcc, s[8:9], v[3:4]
	v_mov_b32_e32 v1, 0
	v_lshlrev_b64 v[7:8], 3, v[3:4]
	v_mov_b32_e32 v5, 0
	s_mov_b32 s5, 0
	v_mov_b32_e32 v2, 0
	v_mov_b32_e32 v6, 0
	s_barrier
	s_and_saveexec_b64 s[2:3], vcc
	s_cbranch_execz .LBB27_2
; %bb.1:
	v_mov_b32_e32 v5, s11
	v_add_co_u32_e64 v4, s[0:1], s10, v7
	v_addc_co_u32_e64 v5, s[0:1], v5, v8, s[0:1]
	global_load_dwordx2 v[5:6], v[4:5], off
	s_waitcnt vmcnt(0)
	v_subrev_co_u32_e64 v5, s[0:1], s20, v5
	v_subbrev_co_u32_e64 v6, s[0:1], 0, v6, s[0:1]
.LBB27_2:
	s_or_b64 exec, exec, s[2:3]
	s_and_saveexec_b64 s[0:1], vcc
	s_cbranch_execz .LBB27_4
; %bb.3:
	v_mov_b32_e32 v2, s13
	v_add_co_u32_e32 v1, vcc, s12, v7
	v_addc_co_u32_e32 v2, vcc, v2, v8, vcc
	global_load_dwordx2 v[1:2], v[1:2], off
	s_waitcnt vmcnt(0)
	v_subrev_co_u32_e32 v1, vcc, s20, v1
	v_subbrev_co_u32_e32 v2, vcc, 0, v2, vcc
.LBB27_4:
	s_or_b64 exec, exec, s[0:1]
	v_sub_co_u32_e32 v7, vcc, v1, v5
	v_subb_co_u32_e32 v8, vcc, v2, v6, vcc
	s_mov_b64 s[0:1], 0x81
	s_mov_b64 s[2:3], 0x80
	v_cmp_gt_i64_e64 s[0:1], s[0:1], v[7:8]
	v_cmp_lt_i64_e32 vcc, s[2:3], v[7:8]
	s_and_saveexec_b64 s[2:3], vcc
	s_xor_b64 s[2:3], exec, s[2:3]
; %bb.5:
	v_mov_b32_e32 v1, 0
	ds_write_b32 v1, v1 offset:64
                                        ; implicit-def: $vgpr5_vgpr6
                                        ; implicit-def: $vgpr1_vgpr2
                                        ; implicit-def: $vgpr3_vgpr4
; %bb.6:
	s_andn2_saveexec_b64 s[6:7], s[2:3]
	s_cbranch_execz .LBB27_11
; %bb.7:
	v_and_b32_e32 v4, 15, v0
	v_add_co_u32_e32 v4, vcc, v5, v4
	v_addc_co_u32_e32 v5, vcc, 0, v6, vcc
	v_cmp_lt_i64_e32 vcc, v[4:5], v[1:2]
	s_and_saveexec_b64 s[16:17], vcc
	s_cbranch_execz .LBB27_10
; %bb.8:
	v_lshlrev_b64 v[8:9], 3, v[4:5]
	v_add_co_u32_e32 v6, vcc, s20, v3
	v_addc_co_u32_e64 v7, s[2:3], 0, 0, vcc
	v_mov_b32_e32 v3, s15
	v_add_co_u32_e32 v8, vcc, s14, v8
	v_addc_co_u32_e32 v9, vcc, v3, v9, vcc
	s_mov_b64 s[18:19], 0
.LBB27_9:                               ; =>This Inner Loop Header: Depth=1
	v_add_co_u32_e32 v4, vcc, 16, v4
	v_addc_co_u32_e32 v5, vcc, 0, v5, vcc
	v_cmp_ge_i64_e64 s[2:3], v[4:5], v[1:2]
	global_store_dwordx2 v[8:9], v[6:7], off
	v_add_co_u32_e32 v8, vcc, 0x80, v8
	s_or_b64 s[18:19], s[2:3], s[18:19]
	v_addc_co_u32_e32 v9, vcc, 0, v9, vcc
	s_andn2_b64 exec, exec, s[18:19]
	s_cbranch_execnz .LBB27_9
.LBB27_10:
	s_or_b64 exec, exec, s[16:17]
.LBB27_11:
	s_or_b64 exec, exec, s[6:7]
	v_lshrrev_b32_e32 v2, 2, v0
	v_cndmask_b32_e64 v1, 0, 1, s[0:1]
	v_and_b32_e32 v2, 60, v2
	ds_write_b32 v2, v1
	v_mov_b32_e32 v1, 0
	s_waitcnt vmcnt(0) lgkmcnt(0)
	s_barrier
	ds_read_b32 v2, v1 offset:64
	s_waitcnt lgkmcnt(0)
	v_cmp_ne_u32_e32 vcc, 0, v2
	s_cbranch_vccnz .LBB27_155
; %bb.12:
	ds_read_b32 v1, v1
	s_waitcnt lgkmcnt(0)
	v_cmp_ne_u32_e32 vcc, 0, v1
	s_cbranch_vccnz .LBB27_21
; %bb.13:
	v_mov_b32_e32 v1, s4
	v_mov_b32_e32 v2, s5
	v_cmp_le_i64_e32 vcc, s[8:9], v[1:2]
	v_cmp_gt_i64_e64 s[0:1], s[8:9], v[1:2]
	v_mov_b32_e32 v1, 0
	v_mov_b32_e32 v3, 0
	;; [unrolled: 1-line block ×4, first 2 shown]
	s_cbranch_vccnz .LBB27_15
; %bb.14:
	s_lshl_b64 s[2:3], s[4:5], 3
	s_add_u32 s2, s10, s2
	s_addc_u32 s3, s11, s3
	v_mov_b32_e32 v3, 0
	global_load_dwordx2 v[3:4], v3, s[2:3]
	s_waitcnt vmcnt(0)
	v_subrev_co_u32_e32 v3, vcc, s20, v3
	v_subbrev_co_u32_e32 v4, vcc, 0, v4, vcc
.LBB27_15:
	s_andn2_b64 vcc, exec, s[0:1]
	s_cbranch_vccnz .LBB27_17
; %bb.16:
	s_lshl_b64 s[0:1], s[4:5], 3
	s_add_u32 s0, s12, s0
	s_addc_u32 s1, s13, s1
	v_mov_b32_e32 v1, 0
	global_load_dwordx2 v[1:2], v1, s[0:1]
	s_waitcnt vmcnt(0)
	v_subrev_co_u32_e32 v1, vcc, s20, v1
	v_subbrev_co_u32_e32 v2, vcc, 0, v2, vcc
.LBB27_17:
	v_add_co_u32_e32 v3, vcc, v3, v0
	v_addc_co_u32_e32 v4, vcc, 0, v4, vcc
	v_cmp_lt_i64_e32 vcc, v[3:4], v[1:2]
	s_and_saveexec_b64 s[2:3], vcc
	s_cbranch_execz .LBB27_20
; %bb.18:
	v_lshlrev_b64 v[5:6], 3, v[3:4]
	s_add_u32 s0, s4, s20
	s_addc_u32 s1, 0, 0
	v_mov_b32_e32 v7, s15
	v_add_co_u32_e32 v5, vcc, s14, v5
	v_addc_co_u32_e32 v6, vcc, v7, v6, vcc
	v_mov_b32_e32 v8, s1
	s_mov_b64 s[6:7], 0
	v_mov_b32_e32 v7, s0
.LBB27_19:                              ; =>This Inner Loop Header: Depth=1
	v_add_co_u32_e32 v3, vcc, 0x100, v3
	v_addc_co_u32_e32 v4, vcc, 0, v4, vcc
	v_cmp_ge_i64_e64 s[0:1], v[3:4], v[1:2]
	global_store_dwordx2 v[5:6], v[7:8], off
	v_add_co_u32_e32 v5, vcc, 0x800, v5
	s_or_b64 s[6:7], s[0:1], s[6:7]
	v_addc_co_u32_e32 v6, vcc, 0, v6, vcc
	s_andn2_b64 exec, exec, s[6:7]
	s_cbranch_execnz .LBB27_19
.LBB27_20:
	s_or_b64 exec, exec, s[2:3]
.LBB27_21:
	v_mov_b32_e32 v9, 0
	ds_read_b32 v1, v9 offset:4
	s_mov_b32 s3, 0
	s_waitcnt lgkmcnt(0)
	v_cmp_ne_u32_e32 vcc, 0, v1
	s_cbranch_vccz .LBB27_23
; %bb.22:
	ds_read_b32 v1, v9 offset:8
	s_waitcnt lgkmcnt(0)
	v_cmp_ne_u32_e32 vcc, 0, v1
	s_cbranch_vccnz .LBB27_39
	s_branch .LBB27_31
.LBB27_23:
	s_or_b32 s2, s4, 1
	v_mov_b32_e32 v1, s2
	v_mov_b32_e32 v2, s3
	v_cmp_le_i64_e32 vcc, s[8:9], v[1:2]
	v_cmp_gt_i64_e64 s[0:1], s[8:9], v[1:2]
	v_mov_b32_e32 v1, 0
	v_mov_b32_e32 v3, 0
	;; [unrolled: 1-line block ×4, first 2 shown]
	s_cbranch_vccnz .LBB27_25
; %bb.24:
	s_lshl_b64 s[6:7], s[4:5], 3
	s_add_u32 s6, s10, s6
	s_addc_u32 s7, s11, s7
	v_mov_b32_e32 v3, 0
	global_load_dwordx2 v[3:4], v3, s[6:7] offset:8
	s_waitcnt vmcnt(0)
	v_subrev_co_u32_e32 v3, vcc, s20, v3
	v_subbrev_co_u32_e32 v4, vcc, 0, v4, vcc
.LBB27_25:
	s_andn2_b64 vcc, exec, s[0:1]
	s_cbranch_vccnz .LBB27_27
; %bb.26:
	s_lshl_b64 s[0:1], s[4:5], 3
	s_add_u32 s0, s12, s0
	s_addc_u32 s1, s13, s1
	v_mov_b32_e32 v1, 0
	global_load_dwordx2 v[1:2], v1, s[0:1] offset:8
	s_waitcnt vmcnt(0)
	v_subrev_co_u32_e32 v1, vcc, s20, v1
	v_subbrev_co_u32_e32 v2, vcc, 0, v2, vcc
.LBB27_27:
	v_add_co_u32_e32 v3, vcc, v3, v0
	v_addc_co_u32_e32 v4, vcc, 0, v4, vcc
	v_cmp_lt_i64_e32 vcc, v[3:4], v[1:2]
	s_and_saveexec_b64 s[6:7], vcc
	s_cbranch_execz .LBB27_30
; %bb.28:
	v_lshlrev_b64 v[5:6], 3, v[3:4]
	s_add_u32 s0, s2, s20
	s_addc_u32 s1, 0, 0
	v_mov_b32_e32 v7, s15
	v_add_co_u32_e32 v5, vcc, s14, v5
	v_addc_co_u32_e32 v6, vcc, v7, v6, vcc
	v_mov_b32_e32 v8, s1
	s_mov_b64 s[2:3], 0
	v_mov_b32_e32 v7, s0
.LBB27_29:                              ; =>This Inner Loop Header: Depth=1
	v_add_co_u32_e32 v3, vcc, 0x100, v3
	v_addc_co_u32_e32 v4, vcc, 0, v4, vcc
	v_cmp_ge_i64_e64 s[0:1], v[3:4], v[1:2]
	global_store_dwordx2 v[5:6], v[7:8], off
	v_add_co_u32_e32 v5, vcc, 0x800, v5
	s_or_b64 s[2:3], s[0:1], s[2:3]
	v_addc_co_u32_e32 v6, vcc, 0, v6, vcc
	s_andn2_b64 exec, exec, s[2:3]
	s_cbranch_execnz .LBB27_29
.LBB27_30:
	s_or_b64 exec, exec, s[6:7]
	ds_read_b32 v1, v9 offset:8
	s_waitcnt lgkmcnt(0)
	v_cmp_ne_u32_e32 vcc, 0, v1
	s_cbranch_vccnz .LBB27_39
.LBB27_31:
	s_or_b32 s2, s4, 2
	s_mov_b32 s3, 0
	v_mov_b32_e32 v1, s2
	v_mov_b32_e32 v2, s3
	v_cmp_le_i64_e32 vcc, s[8:9], v[1:2]
	v_cmp_gt_i64_e64 s[0:1], s[8:9], v[1:2]
	v_mov_b32_e32 v1, 0
	v_mov_b32_e32 v3, 0
	;; [unrolled: 1-line block ×4, first 2 shown]
	s_cbranch_vccnz .LBB27_33
; %bb.32:
	s_lshl_b64 s[6:7], s[4:5], 3
	s_add_u32 s6, s10, s6
	s_addc_u32 s7, s11, s7
	v_mov_b32_e32 v3, 0
	global_load_dwordx2 v[3:4], v3, s[6:7] offset:16
	s_waitcnt vmcnt(0)
	v_subrev_co_u32_e32 v3, vcc, s20, v3
	v_subbrev_co_u32_e32 v4, vcc, 0, v4, vcc
.LBB27_33:
	s_andn2_b64 vcc, exec, s[0:1]
	s_cbranch_vccnz .LBB27_35
; %bb.34:
	s_lshl_b64 s[0:1], s[4:5], 3
	s_add_u32 s0, s12, s0
	s_addc_u32 s1, s13, s1
	v_mov_b32_e32 v1, 0
	global_load_dwordx2 v[1:2], v1, s[0:1] offset:16
	s_waitcnt vmcnt(0)
	v_subrev_co_u32_e32 v1, vcc, s20, v1
	v_subbrev_co_u32_e32 v2, vcc, 0, v2, vcc
.LBB27_35:
	v_add_co_u32_e32 v3, vcc, v3, v0
	v_addc_co_u32_e32 v4, vcc, 0, v4, vcc
	v_cmp_lt_i64_e32 vcc, v[3:4], v[1:2]
	s_and_saveexec_b64 s[6:7], vcc
	s_cbranch_execz .LBB27_38
; %bb.36:
	v_lshlrev_b64 v[5:6], 3, v[3:4]
	s_add_u32 s0, s2, s20
	s_addc_u32 s1, 0, 0
	v_mov_b32_e32 v7, s15
	v_add_co_u32_e32 v5, vcc, s14, v5
	v_addc_co_u32_e32 v6, vcc, v7, v6, vcc
	v_mov_b32_e32 v8, s1
	s_mov_b64 s[2:3], 0
	v_mov_b32_e32 v7, s0
.LBB27_37:                              ; =>This Inner Loop Header: Depth=1
	v_add_co_u32_e32 v3, vcc, 0x100, v3
	v_addc_co_u32_e32 v4, vcc, 0, v4, vcc
	v_cmp_ge_i64_e64 s[0:1], v[3:4], v[1:2]
	global_store_dwordx2 v[5:6], v[7:8], off
	v_add_co_u32_e32 v5, vcc, 0x800, v5
	s_or_b64 s[2:3], s[0:1], s[2:3]
	v_addc_co_u32_e32 v6, vcc, 0, v6, vcc
	s_andn2_b64 exec, exec, s[2:3]
	s_cbranch_execnz .LBB27_37
.LBB27_38:
	s_or_b64 exec, exec, s[6:7]
.LBB27_39:
	v_mov_b32_e32 v9, 0
	ds_read_b32 v1, v9 offset:12
	s_mov_b32 s3, 0
	s_waitcnt lgkmcnt(0)
	v_cmp_ne_u32_e32 vcc, 0, v1
	s_cbranch_vccz .LBB27_41
; %bb.40:
	ds_read_b32 v1, v9 offset:16
	s_waitcnt lgkmcnt(0)
	v_cmp_ne_u32_e32 vcc, 0, v1
	s_cbranch_vccnz .LBB27_57
	s_branch .LBB27_49
.LBB27_41:
	s_or_b32 s2, s4, 3
	v_mov_b32_e32 v1, s2
	v_mov_b32_e32 v2, s3
	v_cmp_le_i64_e32 vcc, s[8:9], v[1:2]
	v_cmp_gt_i64_e64 s[0:1], s[8:9], v[1:2]
	v_mov_b32_e32 v1, 0
	v_mov_b32_e32 v3, 0
	;; [unrolled: 1-line block ×4, first 2 shown]
	s_cbranch_vccnz .LBB27_43
; %bb.42:
	s_lshl_b64 s[6:7], s[4:5], 3
	s_add_u32 s6, s10, s6
	s_addc_u32 s7, s11, s7
	v_mov_b32_e32 v3, 0
	global_load_dwordx2 v[3:4], v3, s[6:7] offset:24
	s_waitcnt vmcnt(0)
	v_subrev_co_u32_e32 v3, vcc, s20, v3
	v_subbrev_co_u32_e32 v4, vcc, 0, v4, vcc
.LBB27_43:
	s_andn2_b64 vcc, exec, s[0:1]
	s_cbranch_vccnz .LBB27_45
; %bb.44:
	s_lshl_b64 s[0:1], s[4:5], 3
	s_add_u32 s0, s12, s0
	s_addc_u32 s1, s13, s1
	v_mov_b32_e32 v1, 0
	global_load_dwordx2 v[1:2], v1, s[0:1] offset:24
	s_waitcnt vmcnt(0)
	v_subrev_co_u32_e32 v1, vcc, s20, v1
	v_subbrev_co_u32_e32 v2, vcc, 0, v2, vcc
.LBB27_45:
	v_add_co_u32_e32 v3, vcc, v3, v0
	v_addc_co_u32_e32 v4, vcc, 0, v4, vcc
	v_cmp_lt_i64_e32 vcc, v[3:4], v[1:2]
	s_and_saveexec_b64 s[6:7], vcc
	s_cbranch_execz .LBB27_48
; %bb.46:
	v_lshlrev_b64 v[5:6], 3, v[3:4]
	s_add_u32 s0, s2, s20
	s_addc_u32 s1, 0, 0
	v_mov_b32_e32 v7, s15
	v_add_co_u32_e32 v5, vcc, s14, v5
	v_addc_co_u32_e32 v6, vcc, v7, v6, vcc
	v_mov_b32_e32 v8, s1
	s_mov_b64 s[2:3], 0
	v_mov_b32_e32 v7, s0
.LBB27_47:                              ; =>This Inner Loop Header: Depth=1
	v_add_co_u32_e32 v3, vcc, 0x100, v3
	v_addc_co_u32_e32 v4, vcc, 0, v4, vcc
	v_cmp_ge_i64_e64 s[0:1], v[3:4], v[1:2]
	global_store_dwordx2 v[5:6], v[7:8], off
	v_add_co_u32_e32 v5, vcc, 0x800, v5
	s_or_b64 s[2:3], s[0:1], s[2:3]
	v_addc_co_u32_e32 v6, vcc, 0, v6, vcc
	s_andn2_b64 exec, exec, s[2:3]
	s_cbranch_execnz .LBB27_47
.LBB27_48:
	s_or_b64 exec, exec, s[6:7]
	ds_read_b32 v1, v9 offset:16
	s_waitcnt lgkmcnt(0)
	v_cmp_ne_u32_e32 vcc, 0, v1
	s_cbranch_vccnz .LBB27_57
.LBB27_49:
	s_or_b32 s2, s4, 4
	s_mov_b32 s3, 0
	v_mov_b32_e32 v1, s2
	v_mov_b32_e32 v2, s3
	v_cmp_le_i64_e32 vcc, s[8:9], v[1:2]
	v_cmp_gt_i64_e64 s[0:1], s[8:9], v[1:2]
	v_mov_b32_e32 v1, 0
	v_mov_b32_e32 v3, 0
	;; [unrolled: 1-line block ×4, first 2 shown]
	s_cbranch_vccnz .LBB27_51
; %bb.50:
	s_lshl_b64 s[6:7], s[4:5], 3
	s_add_u32 s6, s10, s6
	s_addc_u32 s7, s11, s7
	v_mov_b32_e32 v3, 0
	global_load_dwordx2 v[3:4], v3, s[6:7] offset:32
	s_waitcnt vmcnt(0)
	v_subrev_co_u32_e32 v3, vcc, s20, v3
	v_subbrev_co_u32_e32 v4, vcc, 0, v4, vcc
.LBB27_51:
	s_andn2_b64 vcc, exec, s[0:1]
	s_cbranch_vccnz .LBB27_53
; %bb.52:
	s_lshl_b64 s[0:1], s[4:5], 3
	s_add_u32 s0, s12, s0
	s_addc_u32 s1, s13, s1
	v_mov_b32_e32 v1, 0
	global_load_dwordx2 v[1:2], v1, s[0:1] offset:32
	s_waitcnt vmcnt(0)
	v_subrev_co_u32_e32 v1, vcc, s20, v1
	v_subbrev_co_u32_e32 v2, vcc, 0, v2, vcc
.LBB27_53:
	v_add_co_u32_e32 v3, vcc, v3, v0
	v_addc_co_u32_e32 v4, vcc, 0, v4, vcc
	v_cmp_lt_i64_e32 vcc, v[3:4], v[1:2]
	s_and_saveexec_b64 s[6:7], vcc
	s_cbranch_execz .LBB27_56
; %bb.54:
	v_lshlrev_b64 v[5:6], 3, v[3:4]
	s_add_u32 s0, s2, s20
	s_addc_u32 s1, 0, 0
	v_mov_b32_e32 v7, s15
	v_add_co_u32_e32 v5, vcc, s14, v5
	v_addc_co_u32_e32 v6, vcc, v7, v6, vcc
	v_mov_b32_e32 v8, s1
	s_mov_b64 s[2:3], 0
	v_mov_b32_e32 v7, s0
.LBB27_55:                              ; =>This Inner Loop Header: Depth=1
	v_add_co_u32_e32 v3, vcc, 0x100, v3
	v_addc_co_u32_e32 v4, vcc, 0, v4, vcc
	v_cmp_ge_i64_e64 s[0:1], v[3:4], v[1:2]
	global_store_dwordx2 v[5:6], v[7:8], off
	v_add_co_u32_e32 v5, vcc, 0x800, v5
	s_or_b64 s[2:3], s[0:1], s[2:3]
	v_addc_co_u32_e32 v6, vcc, 0, v6, vcc
	s_andn2_b64 exec, exec, s[2:3]
	s_cbranch_execnz .LBB27_55
.LBB27_56:
	s_or_b64 exec, exec, s[6:7]
.LBB27_57:
	v_mov_b32_e32 v9, 0
	ds_read_b32 v1, v9 offset:20
	s_mov_b32 s3, 0
	s_waitcnt lgkmcnt(0)
	v_cmp_ne_u32_e32 vcc, 0, v1
	s_cbranch_vccz .LBB27_59
; %bb.58:
	ds_read_b32 v1, v9 offset:24
	s_waitcnt lgkmcnt(0)
	v_cmp_ne_u32_e32 vcc, 0, v1
	s_cbranch_vccnz .LBB27_75
	s_branch .LBB27_67
.LBB27_59:
	s_or_b32 s2, s4, 5
	v_mov_b32_e32 v1, s2
	v_mov_b32_e32 v2, s3
	v_cmp_le_i64_e32 vcc, s[8:9], v[1:2]
	v_cmp_gt_i64_e64 s[0:1], s[8:9], v[1:2]
	v_mov_b32_e32 v1, 0
	v_mov_b32_e32 v3, 0
	;; [unrolled: 1-line block ×4, first 2 shown]
	s_cbranch_vccnz .LBB27_61
; %bb.60:
	s_lshl_b64 s[6:7], s[4:5], 3
	s_add_u32 s6, s10, s6
	s_addc_u32 s7, s11, s7
	v_mov_b32_e32 v3, 0
	global_load_dwordx2 v[3:4], v3, s[6:7] offset:40
	s_waitcnt vmcnt(0)
	v_subrev_co_u32_e32 v3, vcc, s20, v3
	v_subbrev_co_u32_e32 v4, vcc, 0, v4, vcc
.LBB27_61:
	s_andn2_b64 vcc, exec, s[0:1]
	s_cbranch_vccnz .LBB27_63
; %bb.62:
	s_lshl_b64 s[0:1], s[4:5], 3
	s_add_u32 s0, s12, s0
	s_addc_u32 s1, s13, s1
	v_mov_b32_e32 v1, 0
	global_load_dwordx2 v[1:2], v1, s[0:1] offset:40
	s_waitcnt vmcnt(0)
	v_subrev_co_u32_e32 v1, vcc, s20, v1
	v_subbrev_co_u32_e32 v2, vcc, 0, v2, vcc
.LBB27_63:
	v_add_co_u32_e32 v3, vcc, v3, v0
	v_addc_co_u32_e32 v4, vcc, 0, v4, vcc
	v_cmp_lt_i64_e32 vcc, v[3:4], v[1:2]
	s_and_saveexec_b64 s[6:7], vcc
	s_cbranch_execz .LBB27_66
; %bb.64:
	v_lshlrev_b64 v[5:6], 3, v[3:4]
	s_add_u32 s0, s2, s20
	s_addc_u32 s1, 0, 0
	v_mov_b32_e32 v7, s15
	v_add_co_u32_e32 v5, vcc, s14, v5
	v_addc_co_u32_e32 v6, vcc, v7, v6, vcc
	v_mov_b32_e32 v8, s1
	s_mov_b64 s[2:3], 0
	v_mov_b32_e32 v7, s0
.LBB27_65:                              ; =>This Inner Loop Header: Depth=1
	v_add_co_u32_e32 v3, vcc, 0x100, v3
	v_addc_co_u32_e32 v4, vcc, 0, v4, vcc
	v_cmp_ge_i64_e64 s[0:1], v[3:4], v[1:2]
	global_store_dwordx2 v[5:6], v[7:8], off
	v_add_co_u32_e32 v5, vcc, 0x800, v5
	s_or_b64 s[2:3], s[0:1], s[2:3]
	v_addc_co_u32_e32 v6, vcc, 0, v6, vcc
	s_andn2_b64 exec, exec, s[2:3]
	s_cbranch_execnz .LBB27_65
.LBB27_66:
	s_or_b64 exec, exec, s[6:7]
	ds_read_b32 v1, v9 offset:24
	s_waitcnt lgkmcnt(0)
	v_cmp_ne_u32_e32 vcc, 0, v1
	s_cbranch_vccnz .LBB27_75
.LBB27_67:
	s_or_b32 s2, s4, 6
	s_mov_b32 s3, 0
	v_mov_b32_e32 v1, s2
	v_mov_b32_e32 v2, s3
	v_cmp_le_i64_e32 vcc, s[8:9], v[1:2]
	v_cmp_gt_i64_e64 s[0:1], s[8:9], v[1:2]
	v_mov_b32_e32 v1, 0
	v_mov_b32_e32 v3, 0
	;; [unrolled: 1-line block ×4, first 2 shown]
	s_cbranch_vccnz .LBB27_69
; %bb.68:
	s_lshl_b64 s[6:7], s[4:5], 3
	s_add_u32 s6, s10, s6
	s_addc_u32 s7, s11, s7
	v_mov_b32_e32 v3, 0
	global_load_dwordx2 v[3:4], v3, s[6:7] offset:48
	s_waitcnt vmcnt(0)
	v_subrev_co_u32_e32 v3, vcc, s20, v3
	v_subbrev_co_u32_e32 v4, vcc, 0, v4, vcc
.LBB27_69:
	s_andn2_b64 vcc, exec, s[0:1]
	s_cbranch_vccnz .LBB27_71
; %bb.70:
	s_lshl_b64 s[0:1], s[4:5], 3
	s_add_u32 s0, s12, s0
	s_addc_u32 s1, s13, s1
	v_mov_b32_e32 v1, 0
	global_load_dwordx2 v[1:2], v1, s[0:1] offset:48
	s_waitcnt vmcnt(0)
	v_subrev_co_u32_e32 v1, vcc, s20, v1
	v_subbrev_co_u32_e32 v2, vcc, 0, v2, vcc
.LBB27_71:
	v_add_co_u32_e32 v3, vcc, v3, v0
	v_addc_co_u32_e32 v4, vcc, 0, v4, vcc
	v_cmp_lt_i64_e32 vcc, v[3:4], v[1:2]
	s_and_saveexec_b64 s[6:7], vcc
	s_cbranch_execz .LBB27_74
; %bb.72:
	v_lshlrev_b64 v[5:6], 3, v[3:4]
	s_add_u32 s0, s2, s20
	s_addc_u32 s1, 0, 0
	v_mov_b32_e32 v7, s15
	v_add_co_u32_e32 v5, vcc, s14, v5
	v_addc_co_u32_e32 v6, vcc, v7, v6, vcc
	v_mov_b32_e32 v8, s1
	s_mov_b64 s[2:3], 0
	v_mov_b32_e32 v7, s0
.LBB27_73:                              ; =>This Inner Loop Header: Depth=1
	v_add_co_u32_e32 v3, vcc, 0x100, v3
	v_addc_co_u32_e32 v4, vcc, 0, v4, vcc
	v_cmp_ge_i64_e64 s[0:1], v[3:4], v[1:2]
	global_store_dwordx2 v[5:6], v[7:8], off
	v_add_co_u32_e32 v5, vcc, 0x800, v5
	s_or_b64 s[2:3], s[0:1], s[2:3]
	v_addc_co_u32_e32 v6, vcc, 0, v6, vcc
	s_andn2_b64 exec, exec, s[2:3]
	s_cbranch_execnz .LBB27_73
.LBB27_74:
	s_or_b64 exec, exec, s[6:7]
.LBB27_75:
	v_mov_b32_e32 v9, 0
	ds_read_b32 v1, v9 offset:28
	s_mov_b32 s3, 0
	s_waitcnt lgkmcnt(0)
	v_cmp_ne_u32_e32 vcc, 0, v1
	s_cbranch_vccz .LBB27_77
; %bb.76:
	ds_read_b32 v1, v9 offset:32
	s_waitcnt lgkmcnt(0)
	v_cmp_ne_u32_e32 vcc, 0, v1
	s_cbranch_vccnz .LBB27_93
	s_branch .LBB27_85
.LBB27_77:
	s_or_b32 s2, s4, 7
	v_mov_b32_e32 v1, s2
	v_mov_b32_e32 v2, s3
	v_cmp_le_i64_e32 vcc, s[8:9], v[1:2]
	v_cmp_gt_i64_e64 s[0:1], s[8:9], v[1:2]
	v_mov_b32_e32 v1, 0
	v_mov_b32_e32 v3, 0
	v_mov_b32_e32 v2, 0
	v_mov_b32_e32 v4, 0
	s_cbranch_vccnz .LBB27_79
; %bb.78:
	s_lshl_b64 s[6:7], s[4:5], 3
	s_add_u32 s6, s10, s6
	s_addc_u32 s7, s11, s7
	v_mov_b32_e32 v3, 0
	global_load_dwordx2 v[3:4], v3, s[6:7] offset:56
	s_waitcnt vmcnt(0)
	v_subrev_co_u32_e32 v3, vcc, s20, v3
	v_subbrev_co_u32_e32 v4, vcc, 0, v4, vcc
.LBB27_79:
	s_andn2_b64 vcc, exec, s[0:1]
	s_cbranch_vccnz .LBB27_81
; %bb.80:
	s_lshl_b64 s[0:1], s[4:5], 3
	s_add_u32 s0, s12, s0
	s_addc_u32 s1, s13, s1
	v_mov_b32_e32 v1, 0
	global_load_dwordx2 v[1:2], v1, s[0:1] offset:56
	s_waitcnt vmcnt(0)
	v_subrev_co_u32_e32 v1, vcc, s20, v1
	v_subbrev_co_u32_e32 v2, vcc, 0, v2, vcc
.LBB27_81:
	v_add_co_u32_e32 v3, vcc, v3, v0
	v_addc_co_u32_e32 v4, vcc, 0, v4, vcc
	v_cmp_lt_i64_e32 vcc, v[3:4], v[1:2]
	s_and_saveexec_b64 s[6:7], vcc
	s_cbranch_execz .LBB27_84
; %bb.82:
	v_lshlrev_b64 v[5:6], 3, v[3:4]
	s_add_u32 s0, s2, s20
	s_addc_u32 s1, 0, 0
	v_mov_b32_e32 v7, s15
	v_add_co_u32_e32 v5, vcc, s14, v5
	v_addc_co_u32_e32 v6, vcc, v7, v6, vcc
	v_mov_b32_e32 v8, s1
	s_mov_b64 s[2:3], 0
	v_mov_b32_e32 v7, s0
.LBB27_83:                              ; =>This Inner Loop Header: Depth=1
	v_add_co_u32_e32 v3, vcc, 0x100, v3
	v_addc_co_u32_e32 v4, vcc, 0, v4, vcc
	v_cmp_ge_i64_e64 s[0:1], v[3:4], v[1:2]
	global_store_dwordx2 v[5:6], v[7:8], off
	v_add_co_u32_e32 v5, vcc, 0x800, v5
	s_or_b64 s[2:3], s[0:1], s[2:3]
	v_addc_co_u32_e32 v6, vcc, 0, v6, vcc
	s_andn2_b64 exec, exec, s[2:3]
	s_cbranch_execnz .LBB27_83
.LBB27_84:
	s_or_b64 exec, exec, s[6:7]
	ds_read_b32 v1, v9 offset:32
	s_waitcnt lgkmcnt(0)
	v_cmp_ne_u32_e32 vcc, 0, v1
	s_cbranch_vccnz .LBB27_93
.LBB27_85:
	s_or_b32 s2, s4, 8
	s_mov_b32 s3, 0
	v_mov_b32_e32 v1, s2
	v_mov_b32_e32 v2, s3
	v_cmp_le_i64_e32 vcc, s[8:9], v[1:2]
	v_cmp_gt_i64_e64 s[0:1], s[8:9], v[1:2]
	v_mov_b32_e32 v1, 0
	v_mov_b32_e32 v3, 0
	;; [unrolled: 1-line block ×4, first 2 shown]
	s_cbranch_vccnz .LBB27_87
; %bb.86:
	s_lshl_b64 s[6:7], s[4:5], 3
	s_add_u32 s6, s10, s6
	s_addc_u32 s7, s11, s7
	v_mov_b32_e32 v3, 0
	global_load_dwordx2 v[3:4], v3, s[6:7] offset:64
	s_waitcnt vmcnt(0)
	v_subrev_co_u32_e32 v3, vcc, s20, v3
	v_subbrev_co_u32_e32 v4, vcc, 0, v4, vcc
.LBB27_87:
	s_andn2_b64 vcc, exec, s[0:1]
	s_cbranch_vccnz .LBB27_89
; %bb.88:
	s_lshl_b64 s[0:1], s[4:5], 3
	s_add_u32 s0, s12, s0
	s_addc_u32 s1, s13, s1
	v_mov_b32_e32 v1, 0
	global_load_dwordx2 v[1:2], v1, s[0:1] offset:64
	s_waitcnt vmcnt(0)
	v_subrev_co_u32_e32 v1, vcc, s20, v1
	v_subbrev_co_u32_e32 v2, vcc, 0, v2, vcc
.LBB27_89:
	v_add_co_u32_e32 v3, vcc, v3, v0
	v_addc_co_u32_e32 v4, vcc, 0, v4, vcc
	v_cmp_lt_i64_e32 vcc, v[3:4], v[1:2]
	s_and_saveexec_b64 s[6:7], vcc
	s_cbranch_execz .LBB27_92
; %bb.90:
	v_lshlrev_b64 v[5:6], 3, v[3:4]
	s_add_u32 s0, s2, s20
	s_addc_u32 s1, 0, 0
	v_mov_b32_e32 v7, s15
	v_add_co_u32_e32 v5, vcc, s14, v5
	v_addc_co_u32_e32 v6, vcc, v7, v6, vcc
	v_mov_b32_e32 v8, s1
	s_mov_b64 s[2:3], 0
	v_mov_b32_e32 v7, s0
.LBB27_91:                              ; =>This Inner Loop Header: Depth=1
	v_add_co_u32_e32 v3, vcc, 0x100, v3
	v_addc_co_u32_e32 v4, vcc, 0, v4, vcc
	v_cmp_ge_i64_e64 s[0:1], v[3:4], v[1:2]
	global_store_dwordx2 v[5:6], v[7:8], off
	v_add_co_u32_e32 v5, vcc, 0x800, v5
	s_or_b64 s[2:3], s[0:1], s[2:3]
	v_addc_co_u32_e32 v6, vcc, 0, v6, vcc
	s_andn2_b64 exec, exec, s[2:3]
	s_cbranch_execnz .LBB27_91
.LBB27_92:
	s_or_b64 exec, exec, s[6:7]
.LBB27_93:
	v_mov_b32_e32 v9, 0
	ds_read_b32 v1, v9 offset:36
	s_mov_b32 s3, 0
	s_waitcnt lgkmcnt(0)
	v_cmp_ne_u32_e32 vcc, 0, v1
	s_cbranch_vccz .LBB27_95
; %bb.94:
	ds_read_b32 v1, v9 offset:40
	s_waitcnt lgkmcnt(0)
	v_cmp_ne_u32_e32 vcc, 0, v1
	s_cbranch_vccnz .LBB27_111
	s_branch .LBB27_103
.LBB27_95:
	s_or_b32 s2, s4, 9
	v_mov_b32_e32 v1, s2
	v_mov_b32_e32 v2, s3
	v_cmp_le_i64_e32 vcc, s[8:9], v[1:2]
	v_cmp_gt_i64_e64 s[0:1], s[8:9], v[1:2]
	v_mov_b32_e32 v1, 0
	v_mov_b32_e32 v3, 0
	;; [unrolled: 1-line block ×4, first 2 shown]
	s_cbranch_vccnz .LBB27_97
; %bb.96:
	s_lshl_b64 s[6:7], s[4:5], 3
	s_add_u32 s6, s10, s6
	s_addc_u32 s7, s11, s7
	v_mov_b32_e32 v3, 0
	global_load_dwordx2 v[3:4], v3, s[6:7] offset:72
	s_waitcnt vmcnt(0)
	v_subrev_co_u32_e32 v3, vcc, s20, v3
	v_subbrev_co_u32_e32 v4, vcc, 0, v4, vcc
.LBB27_97:
	s_andn2_b64 vcc, exec, s[0:1]
	s_cbranch_vccnz .LBB27_99
; %bb.98:
	s_lshl_b64 s[0:1], s[4:5], 3
	s_add_u32 s0, s12, s0
	s_addc_u32 s1, s13, s1
	v_mov_b32_e32 v1, 0
	global_load_dwordx2 v[1:2], v1, s[0:1] offset:72
	s_waitcnt vmcnt(0)
	v_subrev_co_u32_e32 v1, vcc, s20, v1
	v_subbrev_co_u32_e32 v2, vcc, 0, v2, vcc
.LBB27_99:
	v_add_co_u32_e32 v3, vcc, v3, v0
	v_addc_co_u32_e32 v4, vcc, 0, v4, vcc
	v_cmp_lt_i64_e32 vcc, v[3:4], v[1:2]
	s_and_saveexec_b64 s[6:7], vcc
	s_cbranch_execz .LBB27_102
; %bb.100:
	v_lshlrev_b64 v[5:6], 3, v[3:4]
	s_add_u32 s0, s2, s20
	s_addc_u32 s1, 0, 0
	v_mov_b32_e32 v7, s15
	v_add_co_u32_e32 v5, vcc, s14, v5
	v_addc_co_u32_e32 v6, vcc, v7, v6, vcc
	v_mov_b32_e32 v8, s1
	s_mov_b64 s[2:3], 0
	v_mov_b32_e32 v7, s0
.LBB27_101:                             ; =>This Inner Loop Header: Depth=1
	v_add_co_u32_e32 v3, vcc, 0x100, v3
	v_addc_co_u32_e32 v4, vcc, 0, v4, vcc
	v_cmp_ge_i64_e64 s[0:1], v[3:4], v[1:2]
	global_store_dwordx2 v[5:6], v[7:8], off
	v_add_co_u32_e32 v5, vcc, 0x800, v5
	s_or_b64 s[2:3], s[0:1], s[2:3]
	v_addc_co_u32_e32 v6, vcc, 0, v6, vcc
	s_andn2_b64 exec, exec, s[2:3]
	s_cbranch_execnz .LBB27_101
.LBB27_102:
	s_or_b64 exec, exec, s[6:7]
	ds_read_b32 v1, v9 offset:40
	s_waitcnt lgkmcnt(0)
	v_cmp_ne_u32_e32 vcc, 0, v1
	s_cbranch_vccnz .LBB27_111
.LBB27_103:
	s_or_b32 s2, s4, 10
	s_mov_b32 s3, 0
	v_mov_b32_e32 v1, s2
	v_mov_b32_e32 v2, s3
	v_cmp_le_i64_e32 vcc, s[8:9], v[1:2]
	v_cmp_gt_i64_e64 s[0:1], s[8:9], v[1:2]
	v_mov_b32_e32 v1, 0
	v_mov_b32_e32 v3, 0
	;; [unrolled: 1-line block ×4, first 2 shown]
	s_cbranch_vccnz .LBB27_105
; %bb.104:
	s_lshl_b64 s[6:7], s[4:5], 3
	s_add_u32 s6, s10, s6
	s_addc_u32 s7, s11, s7
	v_mov_b32_e32 v3, 0
	global_load_dwordx2 v[3:4], v3, s[6:7] offset:80
	s_waitcnt vmcnt(0)
	v_subrev_co_u32_e32 v3, vcc, s20, v3
	v_subbrev_co_u32_e32 v4, vcc, 0, v4, vcc
.LBB27_105:
	s_andn2_b64 vcc, exec, s[0:1]
	s_cbranch_vccnz .LBB27_107
; %bb.106:
	s_lshl_b64 s[0:1], s[4:5], 3
	s_add_u32 s0, s12, s0
	s_addc_u32 s1, s13, s1
	v_mov_b32_e32 v1, 0
	global_load_dwordx2 v[1:2], v1, s[0:1] offset:80
	s_waitcnt vmcnt(0)
	v_subrev_co_u32_e32 v1, vcc, s20, v1
	v_subbrev_co_u32_e32 v2, vcc, 0, v2, vcc
.LBB27_107:
	v_add_co_u32_e32 v3, vcc, v3, v0
	v_addc_co_u32_e32 v4, vcc, 0, v4, vcc
	v_cmp_lt_i64_e32 vcc, v[3:4], v[1:2]
	s_and_saveexec_b64 s[6:7], vcc
	s_cbranch_execz .LBB27_110
; %bb.108:
	v_lshlrev_b64 v[5:6], 3, v[3:4]
	s_add_u32 s0, s2, s20
	s_addc_u32 s1, 0, 0
	v_mov_b32_e32 v7, s15
	v_add_co_u32_e32 v5, vcc, s14, v5
	v_addc_co_u32_e32 v6, vcc, v7, v6, vcc
	v_mov_b32_e32 v8, s1
	s_mov_b64 s[2:3], 0
	v_mov_b32_e32 v7, s0
.LBB27_109:                             ; =>This Inner Loop Header: Depth=1
	v_add_co_u32_e32 v3, vcc, 0x100, v3
	v_addc_co_u32_e32 v4, vcc, 0, v4, vcc
	v_cmp_ge_i64_e64 s[0:1], v[3:4], v[1:2]
	global_store_dwordx2 v[5:6], v[7:8], off
	v_add_co_u32_e32 v5, vcc, 0x800, v5
	s_or_b64 s[2:3], s[0:1], s[2:3]
	v_addc_co_u32_e32 v6, vcc, 0, v6, vcc
	s_andn2_b64 exec, exec, s[2:3]
	s_cbranch_execnz .LBB27_109
.LBB27_110:
	s_or_b64 exec, exec, s[6:7]
.LBB27_111:
	v_mov_b32_e32 v9, 0
	ds_read_b32 v1, v9 offset:44
	s_mov_b32 s3, 0
	s_waitcnt lgkmcnt(0)
	v_cmp_ne_u32_e32 vcc, 0, v1
	s_cbranch_vccz .LBB27_113
; %bb.112:
	ds_read_b32 v1, v9 offset:48
	s_waitcnt lgkmcnt(0)
	v_cmp_ne_u32_e32 vcc, 0, v1
	s_cbranch_vccnz .LBB27_129
	s_branch .LBB27_121
.LBB27_113:
	s_or_b32 s2, s4, 11
	v_mov_b32_e32 v1, s2
	v_mov_b32_e32 v2, s3
	v_cmp_le_i64_e32 vcc, s[8:9], v[1:2]
	v_cmp_gt_i64_e64 s[0:1], s[8:9], v[1:2]
	v_mov_b32_e32 v1, 0
	v_mov_b32_e32 v3, 0
	;; [unrolled: 1-line block ×4, first 2 shown]
	s_cbranch_vccnz .LBB27_115
; %bb.114:
	s_lshl_b64 s[6:7], s[4:5], 3
	s_add_u32 s6, s10, s6
	s_addc_u32 s7, s11, s7
	v_mov_b32_e32 v3, 0
	global_load_dwordx2 v[3:4], v3, s[6:7] offset:88
	s_waitcnt vmcnt(0)
	v_subrev_co_u32_e32 v3, vcc, s20, v3
	v_subbrev_co_u32_e32 v4, vcc, 0, v4, vcc
.LBB27_115:
	s_andn2_b64 vcc, exec, s[0:1]
	s_cbranch_vccnz .LBB27_117
; %bb.116:
	s_lshl_b64 s[0:1], s[4:5], 3
	s_add_u32 s0, s12, s0
	s_addc_u32 s1, s13, s1
	v_mov_b32_e32 v1, 0
	global_load_dwordx2 v[1:2], v1, s[0:1] offset:88
	s_waitcnt vmcnt(0)
	v_subrev_co_u32_e32 v1, vcc, s20, v1
	v_subbrev_co_u32_e32 v2, vcc, 0, v2, vcc
.LBB27_117:
	v_add_co_u32_e32 v3, vcc, v3, v0
	v_addc_co_u32_e32 v4, vcc, 0, v4, vcc
	v_cmp_lt_i64_e32 vcc, v[3:4], v[1:2]
	s_and_saveexec_b64 s[6:7], vcc
	s_cbranch_execz .LBB27_120
; %bb.118:
	v_lshlrev_b64 v[5:6], 3, v[3:4]
	s_add_u32 s0, s2, s20
	s_addc_u32 s1, 0, 0
	v_mov_b32_e32 v7, s15
	v_add_co_u32_e32 v5, vcc, s14, v5
	v_addc_co_u32_e32 v6, vcc, v7, v6, vcc
	v_mov_b32_e32 v8, s1
	s_mov_b64 s[2:3], 0
	v_mov_b32_e32 v7, s0
.LBB27_119:                             ; =>This Inner Loop Header: Depth=1
	v_add_co_u32_e32 v3, vcc, 0x100, v3
	v_addc_co_u32_e32 v4, vcc, 0, v4, vcc
	v_cmp_ge_i64_e64 s[0:1], v[3:4], v[1:2]
	global_store_dwordx2 v[5:6], v[7:8], off
	v_add_co_u32_e32 v5, vcc, 0x800, v5
	s_or_b64 s[2:3], s[0:1], s[2:3]
	v_addc_co_u32_e32 v6, vcc, 0, v6, vcc
	s_andn2_b64 exec, exec, s[2:3]
	s_cbranch_execnz .LBB27_119
.LBB27_120:
	s_or_b64 exec, exec, s[6:7]
	ds_read_b32 v1, v9 offset:48
	s_waitcnt lgkmcnt(0)
	v_cmp_ne_u32_e32 vcc, 0, v1
	s_cbranch_vccnz .LBB27_129
.LBB27_121:
	s_or_b32 s2, s4, 12
	s_mov_b32 s3, 0
	v_mov_b32_e32 v1, s2
	v_mov_b32_e32 v2, s3
	v_cmp_le_i64_e32 vcc, s[8:9], v[1:2]
	v_cmp_gt_i64_e64 s[0:1], s[8:9], v[1:2]
	v_mov_b32_e32 v1, 0
	v_mov_b32_e32 v3, 0
	;; [unrolled: 1-line block ×4, first 2 shown]
	s_cbranch_vccnz .LBB27_123
; %bb.122:
	s_lshl_b64 s[6:7], s[4:5], 3
	s_add_u32 s6, s10, s6
	s_addc_u32 s7, s11, s7
	v_mov_b32_e32 v3, 0
	global_load_dwordx2 v[3:4], v3, s[6:7] offset:96
	s_waitcnt vmcnt(0)
	v_subrev_co_u32_e32 v3, vcc, s20, v3
	v_subbrev_co_u32_e32 v4, vcc, 0, v4, vcc
.LBB27_123:
	s_andn2_b64 vcc, exec, s[0:1]
	s_cbranch_vccnz .LBB27_125
; %bb.124:
	s_lshl_b64 s[0:1], s[4:5], 3
	s_add_u32 s0, s12, s0
	s_addc_u32 s1, s13, s1
	v_mov_b32_e32 v1, 0
	global_load_dwordx2 v[1:2], v1, s[0:1] offset:96
	s_waitcnt vmcnt(0)
	v_subrev_co_u32_e32 v1, vcc, s20, v1
	v_subbrev_co_u32_e32 v2, vcc, 0, v2, vcc
.LBB27_125:
	v_add_co_u32_e32 v3, vcc, v3, v0
	v_addc_co_u32_e32 v4, vcc, 0, v4, vcc
	v_cmp_lt_i64_e32 vcc, v[3:4], v[1:2]
	s_and_saveexec_b64 s[6:7], vcc
	s_cbranch_execz .LBB27_128
; %bb.126:
	v_lshlrev_b64 v[5:6], 3, v[3:4]
	s_add_u32 s0, s2, s20
	s_addc_u32 s1, 0, 0
	v_mov_b32_e32 v7, s15
	v_add_co_u32_e32 v5, vcc, s14, v5
	v_addc_co_u32_e32 v6, vcc, v7, v6, vcc
	v_mov_b32_e32 v8, s1
	s_mov_b64 s[2:3], 0
	v_mov_b32_e32 v7, s0
.LBB27_127:                             ; =>This Inner Loop Header: Depth=1
	v_add_co_u32_e32 v3, vcc, 0x100, v3
	v_addc_co_u32_e32 v4, vcc, 0, v4, vcc
	v_cmp_ge_i64_e64 s[0:1], v[3:4], v[1:2]
	global_store_dwordx2 v[5:6], v[7:8], off
	v_add_co_u32_e32 v5, vcc, 0x800, v5
	s_or_b64 s[2:3], s[0:1], s[2:3]
	v_addc_co_u32_e32 v6, vcc, 0, v6, vcc
	s_andn2_b64 exec, exec, s[2:3]
	s_cbranch_execnz .LBB27_127
.LBB27_128:
	s_or_b64 exec, exec, s[6:7]
.LBB27_129:
	v_mov_b32_e32 v9, 0
	ds_read_b32 v1, v9 offset:52
	s_mov_b32 s3, 0
	s_waitcnt lgkmcnt(0)
	v_cmp_ne_u32_e32 vcc, 0, v1
	s_cbranch_vccz .LBB27_131
; %bb.130:
	ds_read_b32 v1, v9 offset:56
	s_waitcnt lgkmcnt(0)
	v_cmp_ne_u32_e32 vcc, 0, v1
	s_cbranch_vccnz .LBB27_147
	s_branch .LBB27_139
.LBB27_131:
	s_or_b32 s2, s4, 13
	v_mov_b32_e32 v1, s2
	v_mov_b32_e32 v2, s3
	v_cmp_le_i64_e32 vcc, s[8:9], v[1:2]
	v_cmp_gt_i64_e64 s[0:1], s[8:9], v[1:2]
	v_mov_b32_e32 v1, 0
	v_mov_b32_e32 v3, 0
	;; [unrolled: 1-line block ×4, first 2 shown]
	s_cbranch_vccnz .LBB27_133
; %bb.132:
	s_lshl_b64 s[6:7], s[4:5], 3
	s_add_u32 s6, s10, s6
	s_addc_u32 s7, s11, s7
	v_mov_b32_e32 v3, 0
	global_load_dwordx2 v[3:4], v3, s[6:7] offset:104
	s_waitcnt vmcnt(0)
	v_subrev_co_u32_e32 v3, vcc, s20, v3
	v_subbrev_co_u32_e32 v4, vcc, 0, v4, vcc
.LBB27_133:
	s_andn2_b64 vcc, exec, s[0:1]
	s_cbranch_vccnz .LBB27_135
; %bb.134:
	s_lshl_b64 s[0:1], s[4:5], 3
	s_add_u32 s0, s12, s0
	s_addc_u32 s1, s13, s1
	v_mov_b32_e32 v1, 0
	global_load_dwordx2 v[1:2], v1, s[0:1] offset:104
	s_waitcnt vmcnt(0)
	v_subrev_co_u32_e32 v1, vcc, s20, v1
	v_subbrev_co_u32_e32 v2, vcc, 0, v2, vcc
.LBB27_135:
	v_add_co_u32_e32 v3, vcc, v3, v0
	v_addc_co_u32_e32 v4, vcc, 0, v4, vcc
	v_cmp_lt_i64_e32 vcc, v[3:4], v[1:2]
	s_and_saveexec_b64 s[6:7], vcc
	s_cbranch_execz .LBB27_138
; %bb.136:
	v_lshlrev_b64 v[5:6], 3, v[3:4]
	s_add_u32 s0, s2, s20
	s_addc_u32 s1, 0, 0
	v_mov_b32_e32 v7, s15
	v_add_co_u32_e32 v5, vcc, s14, v5
	v_addc_co_u32_e32 v6, vcc, v7, v6, vcc
	v_mov_b32_e32 v8, s1
	s_mov_b64 s[2:3], 0
	v_mov_b32_e32 v7, s0
.LBB27_137:                             ; =>This Inner Loop Header: Depth=1
	v_add_co_u32_e32 v3, vcc, 0x100, v3
	v_addc_co_u32_e32 v4, vcc, 0, v4, vcc
	v_cmp_ge_i64_e64 s[0:1], v[3:4], v[1:2]
	global_store_dwordx2 v[5:6], v[7:8], off
	v_add_co_u32_e32 v5, vcc, 0x800, v5
	s_or_b64 s[2:3], s[0:1], s[2:3]
	v_addc_co_u32_e32 v6, vcc, 0, v6, vcc
	s_andn2_b64 exec, exec, s[2:3]
	s_cbranch_execnz .LBB27_137
.LBB27_138:
	s_or_b64 exec, exec, s[6:7]
	ds_read_b32 v1, v9 offset:56
	s_waitcnt lgkmcnt(0)
	v_cmp_ne_u32_e32 vcc, 0, v1
	s_cbranch_vccnz .LBB27_147
.LBB27_139:
	s_or_b32 s2, s4, 14
	s_mov_b32 s3, 0
	v_mov_b32_e32 v1, s2
	v_mov_b32_e32 v2, s3
	v_cmp_le_i64_e32 vcc, s[8:9], v[1:2]
	v_cmp_gt_i64_e64 s[0:1], s[8:9], v[1:2]
	v_mov_b32_e32 v1, 0
	v_mov_b32_e32 v3, 0
	;; [unrolled: 1-line block ×4, first 2 shown]
	s_cbranch_vccnz .LBB27_141
; %bb.140:
	s_lshl_b64 s[6:7], s[4:5], 3
	s_add_u32 s6, s10, s6
	s_addc_u32 s7, s11, s7
	v_mov_b32_e32 v3, 0
	global_load_dwordx2 v[3:4], v3, s[6:7] offset:112
	s_waitcnt vmcnt(0)
	v_subrev_co_u32_e32 v3, vcc, s20, v3
	v_subbrev_co_u32_e32 v4, vcc, 0, v4, vcc
.LBB27_141:
	s_andn2_b64 vcc, exec, s[0:1]
	s_cbranch_vccnz .LBB27_143
; %bb.142:
	s_lshl_b64 s[0:1], s[4:5], 3
	s_add_u32 s0, s12, s0
	s_addc_u32 s1, s13, s1
	v_mov_b32_e32 v1, 0
	global_load_dwordx2 v[1:2], v1, s[0:1] offset:112
	s_waitcnt vmcnt(0)
	v_subrev_co_u32_e32 v1, vcc, s20, v1
	v_subbrev_co_u32_e32 v2, vcc, 0, v2, vcc
.LBB27_143:
	v_add_co_u32_e32 v3, vcc, v3, v0
	v_addc_co_u32_e32 v4, vcc, 0, v4, vcc
	v_cmp_lt_i64_e32 vcc, v[3:4], v[1:2]
	s_and_saveexec_b64 s[6:7], vcc
	s_cbranch_execz .LBB27_146
; %bb.144:
	v_lshlrev_b64 v[5:6], 3, v[3:4]
	s_add_u32 s0, s2, s20
	s_addc_u32 s1, 0, 0
	v_mov_b32_e32 v7, s15
	v_add_co_u32_e32 v5, vcc, s14, v5
	v_addc_co_u32_e32 v6, vcc, v7, v6, vcc
	v_mov_b32_e32 v8, s1
	s_mov_b64 s[2:3], 0
	v_mov_b32_e32 v7, s0
.LBB27_145:                             ; =>This Inner Loop Header: Depth=1
	v_add_co_u32_e32 v3, vcc, 0x100, v3
	v_addc_co_u32_e32 v4, vcc, 0, v4, vcc
	v_cmp_ge_i64_e64 s[0:1], v[3:4], v[1:2]
	global_store_dwordx2 v[5:6], v[7:8], off
	v_add_co_u32_e32 v5, vcc, 0x800, v5
	s_or_b64 s[2:3], s[0:1], s[2:3]
	v_addc_co_u32_e32 v6, vcc, 0, v6, vcc
	s_andn2_b64 exec, exec, s[2:3]
	s_cbranch_execnz .LBB27_145
.LBB27_146:
	s_or_b64 exec, exec, s[6:7]
.LBB27_147:
	v_mov_b32_e32 v1, 0
	ds_read_b32 v1, v1 offset:60
	s_mov_b32 s3, 0
	s_waitcnt lgkmcnt(0)
	v_cmp_ne_u32_e32 vcc, 0, v1
	s_cbranch_vccnz .LBB27_155
; %bb.148:
	s_or_b32 s2, s4, 15
	v_mov_b32_e32 v1, s2
	v_mov_b32_e32 v2, s3
	v_cmp_le_i64_e32 vcc, s[8:9], v[1:2]
	v_cmp_gt_i64_e64 s[0:1], s[8:9], v[1:2]
	v_mov_b32_e32 v1, 0
	v_mov_b32_e32 v3, 0
	;; [unrolled: 1-line block ×4, first 2 shown]
	s_cbranch_vccnz .LBB27_150
; %bb.149:
	s_lshl_b64 s[6:7], s[4:5], 3
	s_add_u32 s6, s10, s6
	s_addc_u32 s7, s11, s7
	v_mov_b32_e32 v3, 0
	global_load_dwordx2 v[3:4], v3, s[6:7] offset:120
	s_waitcnt vmcnt(0)
	v_subrev_co_u32_e32 v3, vcc, s20, v3
	v_subbrev_co_u32_e32 v4, vcc, 0, v4, vcc
.LBB27_150:
	s_andn2_b64 vcc, exec, s[0:1]
	s_cbranch_vccnz .LBB27_152
; %bb.151:
	s_lshl_b64 s[0:1], s[4:5], 3
	s_add_u32 s0, s12, s0
	s_addc_u32 s1, s13, s1
	v_mov_b32_e32 v1, 0
	global_load_dwordx2 v[1:2], v1, s[0:1] offset:120
	s_waitcnt vmcnt(0)
	v_subrev_co_u32_e32 v1, vcc, s20, v1
	v_subbrev_co_u32_e32 v2, vcc, 0, v2, vcc
.LBB27_152:
	v_add_co_u32_e32 v3, vcc, v3, v0
	v_addc_co_u32_e32 v4, vcc, 0, v4, vcc
	v_cmp_lt_i64_e32 vcc, v[3:4], v[1:2]
	s_and_saveexec_b64 s[0:1], vcc
	s_cbranch_execz .LBB27_155
; %bb.153:
	s_add_u32 s0, s2, s20
	v_lshlrev_b64 v[5:6], 3, v[3:4]
	s_addc_u32 s1, 0, 0
	v_mov_b32_e32 v0, s15
	v_add_co_u32_e32 v5, vcc, s14, v5
	v_mov_b32_e32 v8, s1
	v_addc_co_u32_e32 v6, vcc, v0, v6, vcc
	s_mov_b64 s[2:3], 0
	v_mov_b32_e32 v7, s0
.LBB27_154:                             ; =>This Inner Loop Header: Depth=1
	v_add_co_u32_e32 v3, vcc, 0x100, v3
	v_addc_co_u32_e32 v4, vcc, 0, v4, vcc
	v_cmp_ge_i64_e64 s[0:1], v[3:4], v[1:2]
	global_store_dwordx2 v[5:6], v[7:8], off
	v_add_co_u32_e32 v5, vcc, 0x800, v5
	s_or_b64 s[2:3], s[0:1], s[2:3]
	v_addc_co_u32_e32 v6, vcc, 0, v6, vcc
	s_andn2_b64 exec, exec, s[2:3]
	s_cbranch_execnz .LBB27_154
.LBB27_155:
	s_endpgm
	.section	.rodata,"a",@progbits
	.p2align	6, 0x0
	.amdhsa_kernel _ZN9rocsparseL14csr2coo_kernelILj256ELj16EllEEvT2_PKT1_S4_PS1_21rocsparse_index_base_
		.amdhsa_group_segment_fixed_size 68
		.amdhsa_private_segment_fixed_size 0
		.amdhsa_kernarg_size 36
		.amdhsa_user_sgpr_count 6
		.amdhsa_user_sgpr_private_segment_buffer 1
		.amdhsa_user_sgpr_dispatch_ptr 0
		.amdhsa_user_sgpr_queue_ptr 0
		.amdhsa_user_sgpr_kernarg_segment_ptr 1
		.amdhsa_user_sgpr_dispatch_id 0
		.amdhsa_user_sgpr_flat_scratch_init 0
		.amdhsa_user_sgpr_private_segment_size 0
		.amdhsa_uses_dynamic_stack 0
		.amdhsa_system_sgpr_private_segment_wavefront_offset 0
		.amdhsa_system_sgpr_workgroup_id_x 1
		.amdhsa_system_sgpr_workgroup_id_y 0
		.amdhsa_system_sgpr_workgroup_id_z 0
		.amdhsa_system_sgpr_workgroup_info 0
		.amdhsa_system_vgpr_workitem_id 0
		.amdhsa_next_free_vgpr 10
		.amdhsa_next_free_sgpr 21
		.amdhsa_reserve_vcc 1
		.amdhsa_reserve_flat_scratch 0
		.amdhsa_float_round_mode_32 0
		.amdhsa_float_round_mode_16_64 0
		.amdhsa_float_denorm_mode_32 3
		.amdhsa_float_denorm_mode_16_64 3
		.amdhsa_dx10_clamp 1
		.amdhsa_ieee_mode 1
		.amdhsa_fp16_overflow 0
		.amdhsa_exception_fp_ieee_invalid_op 0
		.amdhsa_exception_fp_denorm_src 0
		.amdhsa_exception_fp_ieee_div_zero 0
		.amdhsa_exception_fp_ieee_overflow 0
		.amdhsa_exception_fp_ieee_underflow 0
		.amdhsa_exception_fp_ieee_inexact 0
		.amdhsa_exception_int_div_zero 0
	.end_amdhsa_kernel
	.section	.text._ZN9rocsparseL14csr2coo_kernelILj256ELj16EllEEvT2_PKT1_S4_PS1_21rocsparse_index_base_,"axG",@progbits,_ZN9rocsparseL14csr2coo_kernelILj256ELj16EllEEvT2_PKT1_S4_PS1_21rocsparse_index_base_,comdat
.Lfunc_end27:
	.size	_ZN9rocsparseL14csr2coo_kernelILj256ELj16EllEEvT2_PKT1_S4_PS1_21rocsparse_index_base_, .Lfunc_end27-_ZN9rocsparseL14csr2coo_kernelILj256ELj16EllEEvT2_PKT1_S4_PS1_21rocsparse_index_base_
                                        ; -- End function
	.set _ZN9rocsparseL14csr2coo_kernelILj256ELj16EllEEvT2_PKT1_S4_PS1_21rocsparse_index_base_.num_vgpr, 10
	.set _ZN9rocsparseL14csr2coo_kernelILj256ELj16EllEEvT2_PKT1_S4_PS1_21rocsparse_index_base_.num_agpr, 0
	.set _ZN9rocsparseL14csr2coo_kernelILj256ELj16EllEEvT2_PKT1_S4_PS1_21rocsparse_index_base_.numbered_sgpr, 21
	.set _ZN9rocsparseL14csr2coo_kernelILj256ELj16EllEEvT2_PKT1_S4_PS1_21rocsparse_index_base_.num_named_barrier, 0
	.set _ZN9rocsparseL14csr2coo_kernelILj256ELj16EllEEvT2_PKT1_S4_PS1_21rocsparse_index_base_.private_seg_size, 0
	.set _ZN9rocsparseL14csr2coo_kernelILj256ELj16EllEEvT2_PKT1_S4_PS1_21rocsparse_index_base_.uses_vcc, 1
	.set _ZN9rocsparseL14csr2coo_kernelILj256ELj16EllEEvT2_PKT1_S4_PS1_21rocsparse_index_base_.uses_flat_scratch, 0
	.set _ZN9rocsparseL14csr2coo_kernelILj256ELj16EllEEvT2_PKT1_S4_PS1_21rocsparse_index_base_.has_dyn_sized_stack, 0
	.set _ZN9rocsparseL14csr2coo_kernelILj256ELj16EllEEvT2_PKT1_S4_PS1_21rocsparse_index_base_.has_recursion, 0
	.set _ZN9rocsparseL14csr2coo_kernelILj256ELj16EllEEvT2_PKT1_S4_PS1_21rocsparse_index_base_.has_indirect_call, 0
	.section	.AMDGPU.csdata,"",@progbits
; Kernel info:
; codeLenInByte = 4840
; TotalNumSgprs: 25
; NumVgprs: 10
; ScratchSize: 0
; MemoryBound: 0
; FloatMode: 240
; IeeeMode: 1
; LDSByteSize: 68 bytes/workgroup (compile time only)
; SGPRBlocks: 3
; VGPRBlocks: 2
; NumSGPRsForWavesPerEU: 25
; NumVGPRsForWavesPerEU: 10
; Occupancy: 10
; WaveLimiterHint : 0
; COMPUTE_PGM_RSRC2:SCRATCH_EN: 0
; COMPUTE_PGM_RSRC2:USER_SGPR: 6
; COMPUTE_PGM_RSRC2:TRAP_HANDLER: 0
; COMPUTE_PGM_RSRC2:TGID_X_EN: 1
; COMPUTE_PGM_RSRC2:TGID_Y_EN: 0
; COMPUTE_PGM_RSRC2:TGID_Z_EN: 0
; COMPUTE_PGM_RSRC2:TIDIG_COMP_CNT: 0
	.section	.text._ZN9rocsparseL14csr2coo_kernelILj256ELj32EllEEvT2_PKT1_S4_PS1_21rocsparse_index_base_,"axG",@progbits,_ZN9rocsparseL14csr2coo_kernelILj256ELj32EllEEvT2_PKT1_S4_PS1_21rocsparse_index_base_,comdat
	.globl	_ZN9rocsparseL14csr2coo_kernelILj256ELj32EllEEvT2_PKT1_S4_PS1_21rocsparse_index_base_ ; -- Begin function _ZN9rocsparseL14csr2coo_kernelILj256ELj32EllEEvT2_PKT1_S4_PS1_21rocsparse_index_base_
	.p2align	8
	.type	_ZN9rocsparseL14csr2coo_kernelILj256ELj32EllEEvT2_PKT1_S4_PS1_21rocsparse_index_base_,@function
_ZN9rocsparseL14csr2coo_kernelILj256ELj32EllEEvT2_PKT1_S4_PS1_21rocsparse_index_base_: ; @_ZN9rocsparseL14csr2coo_kernelILj256ELj32EllEEvT2_PKT1_S4_PS1_21rocsparse_index_base_
; %bb.0:
	s_load_dwordx8 s[8:15], s[4:5], 0x0
	s_load_dword s20, s[4:5], 0x20
	v_lshrrev_b32_e32 v1, 5, v0
	s_lshl_b32 s4, s6, 3
	v_mov_b32_e32 v4, 0
	v_mov_b32_e32 v2, 1
	v_or_b32_e32 v3, s4, v1
	ds_write_b32 v4, v2 offset:32
	s_waitcnt lgkmcnt(0)
	v_cmp_gt_i64_e32 vcc, s[8:9], v[3:4]
	v_mov_b32_e32 v1, 0
	v_lshlrev_b64 v[7:8], 3, v[3:4]
	v_mov_b32_e32 v5, 0
	s_mov_b32 s5, 0
	v_mov_b32_e32 v2, 0
	v_mov_b32_e32 v6, 0
	s_barrier
	s_and_saveexec_b64 s[2:3], vcc
	s_cbranch_execz .LBB28_2
; %bb.1:
	v_mov_b32_e32 v5, s11
	v_add_co_u32_e64 v4, s[0:1], s10, v7
	v_addc_co_u32_e64 v5, s[0:1], v5, v8, s[0:1]
	global_load_dwordx2 v[5:6], v[4:5], off
	s_waitcnt vmcnt(0)
	v_subrev_co_u32_e64 v5, s[0:1], s20, v5
	v_subbrev_co_u32_e64 v6, s[0:1], 0, v6, s[0:1]
.LBB28_2:
	s_or_b64 exec, exec, s[2:3]
	s_and_saveexec_b64 s[0:1], vcc
	s_cbranch_execz .LBB28_4
; %bb.3:
	v_mov_b32_e32 v2, s13
	v_add_co_u32_e32 v1, vcc, s12, v7
	v_addc_co_u32_e32 v2, vcc, v2, v8, vcc
	global_load_dwordx2 v[1:2], v[1:2], off
	s_waitcnt vmcnt(0)
	v_subrev_co_u32_e32 v1, vcc, s20, v1
	v_subbrev_co_u32_e32 v2, vcc, 0, v2, vcc
.LBB28_4:
	s_or_b64 exec, exec, s[0:1]
	v_sub_co_u32_e32 v7, vcc, v1, v5
	v_subb_co_u32_e32 v8, vcc, v2, v6, vcc
	s_mov_b64 s[0:1], 0x101
	s_mov_b64 s[2:3], 0x100
	v_cmp_gt_i64_e64 s[0:1], s[0:1], v[7:8]
	v_cmp_lt_i64_e32 vcc, s[2:3], v[7:8]
	s_and_saveexec_b64 s[2:3], vcc
	s_xor_b64 s[2:3], exec, s[2:3]
; %bb.5:
	v_mov_b32_e32 v1, 0
	ds_write_b32 v1, v1 offset:32
                                        ; implicit-def: $vgpr5_vgpr6
                                        ; implicit-def: $vgpr1_vgpr2
                                        ; implicit-def: $vgpr3_vgpr4
; %bb.6:
	s_andn2_saveexec_b64 s[6:7], s[2:3]
	s_cbranch_execz .LBB28_11
; %bb.7:
	v_and_b32_e32 v4, 31, v0
	v_add_co_u32_e32 v4, vcc, v5, v4
	v_addc_co_u32_e32 v5, vcc, 0, v6, vcc
	v_cmp_lt_i64_e32 vcc, v[4:5], v[1:2]
	s_and_saveexec_b64 s[16:17], vcc
	s_cbranch_execz .LBB28_10
; %bb.8:
	v_lshlrev_b64 v[8:9], 3, v[4:5]
	v_add_co_u32_e32 v6, vcc, s20, v3
	v_addc_co_u32_e64 v7, s[2:3], 0, 0, vcc
	v_mov_b32_e32 v3, s15
	v_add_co_u32_e32 v8, vcc, s14, v8
	v_addc_co_u32_e32 v9, vcc, v3, v9, vcc
	s_mov_b64 s[18:19], 0
.LBB28_9:                               ; =>This Inner Loop Header: Depth=1
	v_add_co_u32_e32 v4, vcc, 32, v4
	v_addc_co_u32_e32 v5, vcc, 0, v5, vcc
	v_cmp_ge_i64_e64 s[2:3], v[4:5], v[1:2]
	global_store_dwordx2 v[8:9], v[6:7], off
	v_add_co_u32_e32 v8, vcc, 0x100, v8
	s_or_b64 s[18:19], s[2:3], s[18:19]
	v_addc_co_u32_e32 v9, vcc, 0, v9, vcc
	s_andn2_b64 exec, exec, s[18:19]
	s_cbranch_execnz .LBB28_9
.LBB28_10:
	s_or_b64 exec, exec, s[16:17]
.LBB28_11:
	s_or_b64 exec, exec, s[6:7]
	v_lshrrev_b32_e32 v2, 3, v0
	v_cndmask_b32_e64 v1, 0, 1, s[0:1]
	v_and_b32_e32 v2, 28, v2
	ds_write_b32 v2, v1
	v_mov_b32_e32 v1, 0
	s_waitcnt vmcnt(0) lgkmcnt(0)
	s_barrier
	ds_read_b32 v2, v1 offset:32
	s_waitcnt lgkmcnt(0)
	v_cmp_ne_u32_e32 vcc, 0, v2
	s_cbranch_vccnz .LBB28_83
; %bb.12:
	ds_read_b32 v1, v1
	s_waitcnt lgkmcnt(0)
	v_cmp_ne_u32_e32 vcc, 0, v1
	s_cbranch_vccnz .LBB28_21
; %bb.13:
	v_mov_b32_e32 v1, s4
	v_mov_b32_e32 v2, s5
	v_cmp_le_i64_e32 vcc, s[8:9], v[1:2]
	v_cmp_gt_i64_e64 s[0:1], s[8:9], v[1:2]
	v_mov_b32_e32 v1, 0
	v_mov_b32_e32 v3, 0
	;; [unrolled: 1-line block ×4, first 2 shown]
	s_cbranch_vccnz .LBB28_15
; %bb.14:
	s_lshl_b64 s[2:3], s[4:5], 3
	s_add_u32 s2, s10, s2
	s_addc_u32 s3, s11, s3
	v_mov_b32_e32 v3, 0
	global_load_dwordx2 v[3:4], v3, s[2:3]
	s_waitcnt vmcnt(0)
	v_subrev_co_u32_e32 v3, vcc, s20, v3
	v_subbrev_co_u32_e32 v4, vcc, 0, v4, vcc
.LBB28_15:
	s_andn2_b64 vcc, exec, s[0:1]
	s_cbranch_vccnz .LBB28_17
; %bb.16:
	s_lshl_b64 s[0:1], s[4:5], 3
	s_add_u32 s0, s12, s0
	s_addc_u32 s1, s13, s1
	v_mov_b32_e32 v1, 0
	global_load_dwordx2 v[1:2], v1, s[0:1]
	s_waitcnt vmcnt(0)
	v_subrev_co_u32_e32 v1, vcc, s20, v1
	v_subbrev_co_u32_e32 v2, vcc, 0, v2, vcc
.LBB28_17:
	v_add_co_u32_e32 v3, vcc, v3, v0
	v_addc_co_u32_e32 v4, vcc, 0, v4, vcc
	v_cmp_lt_i64_e32 vcc, v[3:4], v[1:2]
	s_and_saveexec_b64 s[2:3], vcc
	s_cbranch_execz .LBB28_20
; %bb.18:
	v_lshlrev_b64 v[5:6], 3, v[3:4]
	s_add_u32 s0, s4, s20
	s_addc_u32 s1, 0, 0
	v_mov_b32_e32 v7, s15
	v_add_co_u32_e32 v5, vcc, s14, v5
	v_addc_co_u32_e32 v6, vcc, v7, v6, vcc
	v_mov_b32_e32 v8, s1
	s_mov_b64 s[6:7], 0
	v_mov_b32_e32 v7, s0
.LBB28_19:                              ; =>This Inner Loop Header: Depth=1
	v_add_co_u32_e32 v3, vcc, 0x100, v3
	v_addc_co_u32_e32 v4, vcc, 0, v4, vcc
	v_cmp_ge_i64_e64 s[0:1], v[3:4], v[1:2]
	global_store_dwordx2 v[5:6], v[7:8], off
	v_add_co_u32_e32 v5, vcc, 0x800, v5
	s_or_b64 s[6:7], s[0:1], s[6:7]
	v_addc_co_u32_e32 v6, vcc, 0, v6, vcc
	s_andn2_b64 exec, exec, s[6:7]
	s_cbranch_execnz .LBB28_19
.LBB28_20:
	s_or_b64 exec, exec, s[2:3]
.LBB28_21:
	v_mov_b32_e32 v9, 0
	ds_read_b32 v1, v9 offset:4
	s_mov_b32 s3, 0
	s_waitcnt lgkmcnt(0)
	v_cmp_ne_u32_e32 vcc, 0, v1
	s_cbranch_vccz .LBB28_23
; %bb.22:
	ds_read_b32 v1, v9 offset:8
	s_waitcnt lgkmcnt(0)
	v_cmp_ne_u32_e32 vcc, 0, v1
	s_cbranch_vccnz .LBB28_39
	s_branch .LBB28_31
.LBB28_23:
	s_or_b32 s2, s4, 1
	v_mov_b32_e32 v1, s2
	v_mov_b32_e32 v2, s3
	v_cmp_le_i64_e32 vcc, s[8:9], v[1:2]
	v_cmp_gt_i64_e64 s[0:1], s[8:9], v[1:2]
	v_mov_b32_e32 v1, 0
	v_mov_b32_e32 v3, 0
	;; [unrolled: 1-line block ×4, first 2 shown]
	s_cbranch_vccnz .LBB28_25
; %bb.24:
	s_lshl_b64 s[6:7], s[4:5], 3
	s_add_u32 s6, s10, s6
	s_addc_u32 s7, s11, s7
	v_mov_b32_e32 v3, 0
	global_load_dwordx2 v[3:4], v3, s[6:7] offset:8
	s_waitcnt vmcnt(0)
	v_subrev_co_u32_e32 v3, vcc, s20, v3
	v_subbrev_co_u32_e32 v4, vcc, 0, v4, vcc
.LBB28_25:
	s_andn2_b64 vcc, exec, s[0:1]
	s_cbranch_vccnz .LBB28_27
; %bb.26:
	s_lshl_b64 s[0:1], s[4:5], 3
	s_add_u32 s0, s12, s0
	s_addc_u32 s1, s13, s1
	v_mov_b32_e32 v1, 0
	global_load_dwordx2 v[1:2], v1, s[0:1] offset:8
	s_waitcnt vmcnt(0)
	v_subrev_co_u32_e32 v1, vcc, s20, v1
	v_subbrev_co_u32_e32 v2, vcc, 0, v2, vcc
.LBB28_27:
	v_add_co_u32_e32 v3, vcc, v3, v0
	v_addc_co_u32_e32 v4, vcc, 0, v4, vcc
	v_cmp_lt_i64_e32 vcc, v[3:4], v[1:2]
	s_and_saveexec_b64 s[6:7], vcc
	s_cbranch_execz .LBB28_30
; %bb.28:
	v_lshlrev_b64 v[5:6], 3, v[3:4]
	s_add_u32 s0, s2, s20
	s_addc_u32 s1, 0, 0
	v_mov_b32_e32 v7, s15
	v_add_co_u32_e32 v5, vcc, s14, v5
	v_addc_co_u32_e32 v6, vcc, v7, v6, vcc
	v_mov_b32_e32 v8, s1
	s_mov_b64 s[2:3], 0
	v_mov_b32_e32 v7, s0
.LBB28_29:                              ; =>This Inner Loop Header: Depth=1
	v_add_co_u32_e32 v3, vcc, 0x100, v3
	v_addc_co_u32_e32 v4, vcc, 0, v4, vcc
	v_cmp_ge_i64_e64 s[0:1], v[3:4], v[1:2]
	global_store_dwordx2 v[5:6], v[7:8], off
	v_add_co_u32_e32 v5, vcc, 0x800, v5
	s_or_b64 s[2:3], s[0:1], s[2:3]
	v_addc_co_u32_e32 v6, vcc, 0, v6, vcc
	s_andn2_b64 exec, exec, s[2:3]
	s_cbranch_execnz .LBB28_29
.LBB28_30:
	s_or_b64 exec, exec, s[6:7]
	ds_read_b32 v1, v9 offset:8
	s_waitcnt lgkmcnt(0)
	v_cmp_ne_u32_e32 vcc, 0, v1
	s_cbranch_vccnz .LBB28_39
.LBB28_31:
	s_or_b32 s2, s4, 2
	s_mov_b32 s3, 0
	v_mov_b32_e32 v1, s2
	v_mov_b32_e32 v2, s3
	v_cmp_le_i64_e32 vcc, s[8:9], v[1:2]
	v_cmp_gt_i64_e64 s[0:1], s[8:9], v[1:2]
	v_mov_b32_e32 v1, 0
	v_mov_b32_e32 v3, 0
	;; [unrolled: 1-line block ×4, first 2 shown]
	s_cbranch_vccnz .LBB28_33
; %bb.32:
	s_lshl_b64 s[6:7], s[4:5], 3
	s_add_u32 s6, s10, s6
	s_addc_u32 s7, s11, s7
	v_mov_b32_e32 v3, 0
	global_load_dwordx2 v[3:4], v3, s[6:7] offset:16
	s_waitcnt vmcnt(0)
	v_subrev_co_u32_e32 v3, vcc, s20, v3
	v_subbrev_co_u32_e32 v4, vcc, 0, v4, vcc
.LBB28_33:
	s_andn2_b64 vcc, exec, s[0:1]
	s_cbranch_vccnz .LBB28_35
; %bb.34:
	s_lshl_b64 s[0:1], s[4:5], 3
	s_add_u32 s0, s12, s0
	s_addc_u32 s1, s13, s1
	v_mov_b32_e32 v1, 0
	global_load_dwordx2 v[1:2], v1, s[0:1] offset:16
	s_waitcnt vmcnt(0)
	v_subrev_co_u32_e32 v1, vcc, s20, v1
	v_subbrev_co_u32_e32 v2, vcc, 0, v2, vcc
.LBB28_35:
	v_add_co_u32_e32 v3, vcc, v3, v0
	v_addc_co_u32_e32 v4, vcc, 0, v4, vcc
	v_cmp_lt_i64_e32 vcc, v[3:4], v[1:2]
	s_and_saveexec_b64 s[6:7], vcc
	s_cbranch_execz .LBB28_38
; %bb.36:
	v_lshlrev_b64 v[5:6], 3, v[3:4]
	s_add_u32 s0, s2, s20
	s_addc_u32 s1, 0, 0
	v_mov_b32_e32 v7, s15
	v_add_co_u32_e32 v5, vcc, s14, v5
	v_addc_co_u32_e32 v6, vcc, v7, v6, vcc
	v_mov_b32_e32 v8, s1
	s_mov_b64 s[2:3], 0
	v_mov_b32_e32 v7, s0
.LBB28_37:                              ; =>This Inner Loop Header: Depth=1
	v_add_co_u32_e32 v3, vcc, 0x100, v3
	v_addc_co_u32_e32 v4, vcc, 0, v4, vcc
	v_cmp_ge_i64_e64 s[0:1], v[3:4], v[1:2]
	global_store_dwordx2 v[5:6], v[7:8], off
	v_add_co_u32_e32 v5, vcc, 0x800, v5
	s_or_b64 s[2:3], s[0:1], s[2:3]
	v_addc_co_u32_e32 v6, vcc, 0, v6, vcc
	s_andn2_b64 exec, exec, s[2:3]
	s_cbranch_execnz .LBB28_37
.LBB28_38:
	s_or_b64 exec, exec, s[6:7]
.LBB28_39:
	v_mov_b32_e32 v9, 0
	ds_read_b32 v1, v9 offset:12
	s_mov_b32 s3, 0
	s_waitcnt lgkmcnt(0)
	v_cmp_ne_u32_e32 vcc, 0, v1
	s_cbranch_vccz .LBB28_41
; %bb.40:
	ds_read_b32 v1, v9 offset:16
	s_waitcnt lgkmcnt(0)
	v_cmp_ne_u32_e32 vcc, 0, v1
	s_cbranch_vccnz .LBB28_57
	s_branch .LBB28_49
.LBB28_41:
	s_or_b32 s2, s4, 3
	v_mov_b32_e32 v1, s2
	v_mov_b32_e32 v2, s3
	v_cmp_le_i64_e32 vcc, s[8:9], v[1:2]
	v_cmp_gt_i64_e64 s[0:1], s[8:9], v[1:2]
	v_mov_b32_e32 v1, 0
	v_mov_b32_e32 v3, 0
	;; [unrolled: 1-line block ×4, first 2 shown]
	s_cbranch_vccnz .LBB28_43
; %bb.42:
	s_lshl_b64 s[6:7], s[4:5], 3
	s_add_u32 s6, s10, s6
	s_addc_u32 s7, s11, s7
	v_mov_b32_e32 v3, 0
	global_load_dwordx2 v[3:4], v3, s[6:7] offset:24
	s_waitcnt vmcnt(0)
	v_subrev_co_u32_e32 v3, vcc, s20, v3
	v_subbrev_co_u32_e32 v4, vcc, 0, v4, vcc
.LBB28_43:
	s_andn2_b64 vcc, exec, s[0:1]
	s_cbranch_vccnz .LBB28_45
; %bb.44:
	s_lshl_b64 s[0:1], s[4:5], 3
	s_add_u32 s0, s12, s0
	s_addc_u32 s1, s13, s1
	v_mov_b32_e32 v1, 0
	global_load_dwordx2 v[1:2], v1, s[0:1] offset:24
	s_waitcnt vmcnt(0)
	v_subrev_co_u32_e32 v1, vcc, s20, v1
	v_subbrev_co_u32_e32 v2, vcc, 0, v2, vcc
.LBB28_45:
	v_add_co_u32_e32 v3, vcc, v3, v0
	v_addc_co_u32_e32 v4, vcc, 0, v4, vcc
	v_cmp_lt_i64_e32 vcc, v[3:4], v[1:2]
	s_and_saveexec_b64 s[6:7], vcc
	s_cbranch_execz .LBB28_48
; %bb.46:
	v_lshlrev_b64 v[5:6], 3, v[3:4]
	s_add_u32 s0, s2, s20
	s_addc_u32 s1, 0, 0
	v_mov_b32_e32 v7, s15
	v_add_co_u32_e32 v5, vcc, s14, v5
	v_addc_co_u32_e32 v6, vcc, v7, v6, vcc
	v_mov_b32_e32 v8, s1
	s_mov_b64 s[2:3], 0
	v_mov_b32_e32 v7, s0
.LBB28_47:                              ; =>This Inner Loop Header: Depth=1
	v_add_co_u32_e32 v3, vcc, 0x100, v3
	v_addc_co_u32_e32 v4, vcc, 0, v4, vcc
	v_cmp_ge_i64_e64 s[0:1], v[3:4], v[1:2]
	global_store_dwordx2 v[5:6], v[7:8], off
	v_add_co_u32_e32 v5, vcc, 0x800, v5
	s_or_b64 s[2:3], s[0:1], s[2:3]
	v_addc_co_u32_e32 v6, vcc, 0, v6, vcc
	s_andn2_b64 exec, exec, s[2:3]
	s_cbranch_execnz .LBB28_47
.LBB28_48:
	s_or_b64 exec, exec, s[6:7]
	ds_read_b32 v1, v9 offset:16
	s_waitcnt lgkmcnt(0)
	v_cmp_ne_u32_e32 vcc, 0, v1
	s_cbranch_vccnz .LBB28_57
.LBB28_49:
	s_or_b32 s2, s4, 4
	s_mov_b32 s3, 0
	v_mov_b32_e32 v1, s2
	v_mov_b32_e32 v2, s3
	v_cmp_le_i64_e32 vcc, s[8:9], v[1:2]
	v_cmp_gt_i64_e64 s[0:1], s[8:9], v[1:2]
	v_mov_b32_e32 v1, 0
	v_mov_b32_e32 v3, 0
	v_mov_b32_e32 v2, 0
	v_mov_b32_e32 v4, 0
	s_cbranch_vccnz .LBB28_51
; %bb.50:
	s_lshl_b64 s[6:7], s[4:5], 3
	s_add_u32 s6, s10, s6
	s_addc_u32 s7, s11, s7
	v_mov_b32_e32 v3, 0
	global_load_dwordx2 v[3:4], v3, s[6:7] offset:32
	s_waitcnt vmcnt(0)
	v_subrev_co_u32_e32 v3, vcc, s20, v3
	v_subbrev_co_u32_e32 v4, vcc, 0, v4, vcc
.LBB28_51:
	s_andn2_b64 vcc, exec, s[0:1]
	s_cbranch_vccnz .LBB28_53
; %bb.52:
	s_lshl_b64 s[0:1], s[4:5], 3
	s_add_u32 s0, s12, s0
	s_addc_u32 s1, s13, s1
	v_mov_b32_e32 v1, 0
	global_load_dwordx2 v[1:2], v1, s[0:1] offset:32
	s_waitcnt vmcnt(0)
	v_subrev_co_u32_e32 v1, vcc, s20, v1
	v_subbrev_co_u32_e32 v2, vcc, 0, v2, vcc
.LBB28_53:
	v_add_co_u32_e32 v3, vcc, v3, v0
	v_addc_co_u32_e32 v4, vcc, 0, v4, vcc
	v_cmp_lt_i64_e32 vcc, v[3:4], v[1:2]
	s_and_saveexec_b64 s[6:7], vcc
	s_cbranch_execz .LBB28_56
; %bb.54:
	v_lshlrev_b64 v[5:6], 3, v[3:4]
	s_add_u32 s0, s2, s20
	s_addc_u32 s1, 0, 0
	v_mov_b32_e32 v7, s15
	v_add_co_u32_e32 v5, vcc, s14, v5
	v_addc_co_u32_e32 v6, vcc, v7, v6, vcc
	v_mov_b32_e32 v8, s1
	s_mov_b64 s[2:3], 0
	v_mov_b32_e32 v7, s0
.LBB28_55:                              ; =>This Inner Loop Header: Depth=1
	v_add_co_u32_e32 v3, vcc, 0x100, v3
	v_addc_co_u32_e32 v4, vcc, 0, v4, vcc
	v_cmp_ge_i64_e64 s[0:1], v[3:4], v[1:2]
	global_store_dwordx2 v[5:6], v[7:8], off
	v_add_co_u32_e32 v5, vcc, 0x800, v5
	s_or_b64 s[2:3], s[0:1], s[2:3]
	v_addc_co_u32_e32 v6, vcc, 0, v6, vcc
	s_andn2_b64 exec, exec, s[2:3]
	s_cbranch_execnz .LBB28_55
.LBB28_56:
	s_or_b64 exec, exec, s[6:7]
.LBB28_57:
	v_mov_b32_e32 v9, 0
	ds_read_b32 v1, v9 offset:20
	s_mov_b32 s3, 0
	s_waitcnt lgkmcnt(0)
	v_cmp_ne_u32_e32 vcc, 0, v1
	s_cbranch_vccz .LBB28_59
; %bb.58:
	ds_read_b32 v1, v9 offset:24
	s_waitcnt lgkmcnt(0)
	v_cmp_ne_u32_e32 vcc, 0, v1
	s_cbranch_vccnz .LBB28_75
	s_branch .LBB28_67
.LBB28_59:
	s_or_b32 s2, s4, 5
	v_mov_b32_e32 v1, s2
	v_mov_b32_e32 v2, s3
	v_cmp_le_i64_e32 vcc, s[8:9], v[1:2]
	v_cmp_gt_i64_e64 s[0:1], s[8:9], v[1:2]
	v_mov_b32_e32 v1, 0
	v_mov_b32_e32 v3, 0
	;; [unrolled: 1-line block ×4, first 2 shown]
	s_cbranch_vccnz .LBB28_61
; %bb.60:
	s_lshl_b64 s[6:7], s[4:5], 3
	s_add_u32 s6, s10, s6
	s_addc_u32 s7, s11, s7
	v_mov_b32_e32 v3, 0
	global_load_dwordx2 v[3:4], v3, s[6:7] offset:40
	s_waitcnt vmcnt(0)
	v_subrev_co_u32_e32 v3, vcc, s20, v3
	v_subbrev_co_u32_e32 v4, vcc, 0, v4, vcc
.LBB28_61:
	s_andn2_b64 vcc, exec, s[0:1]
	s_cbranch_vccnz .LBB28_63
; %bb.62:
	s_lshl_b64 s[0:1], s[4:5], 3
	s_add_u32 s0, s12, s0
	s_addc_u32 s1, s13, s1
	v_mov_b32_e32 v1, 0
	global_load_dwordx2 v[1:2], v1, s[0:1] offset:40
	s_waitcnt vmcnt(0)
	v_subrev_co_u32_e32 v1, vcc, s20, v1
	v_subbrev_co_u32_e32 v2, vcc, 0, v2, vcc
.LBB28_63:
	v_add_co_u32_e32 v3, vcc, v3, v0
	v_addc_co_u32_e32 v4, vcc, 0, v4, vcc
	v_cmp_lt_i64_e32 vcc, v[3:4], v[1:2]
	s_and_saveexec_b64 s[6:7], vcc
	s_cbranch_execz .LBB28_66
; %bb.64:
	v_lshlrev_b64 v[5:6], 3, v[3:4]
	s_add_u32 s0, s2, s20
	s_addc_u32 s1, 0, 0
	v_mov_b32_e32 v7, s15
	v_add_co_u32_e32 v5, vcc, s14, v5
	v_addc_co_u32_e32 v6, vcc, v7, v6, vcc
	v_mov_b32_e32 v8, s1
	s_mov_b64 s[2:3], 0
	v_mov_b32_e32 v7, s0
.LBB28_65:                              ; =>This Inner Loop Header: Depth=1
	v_add_co_u32_e32 v3, vcc, 0x100, v3
	v_addc_co_u32_e32 v4, vcc, 0, v4, vcc
	v_cmp_ge_i64_e64 s[0:1], v[3:4], v[1:2]
	global_store_dwordx2 v[5:6], v[7:8], off
	v_add_co_u32_e32 v5, vcc, 0x800, v5
	s_or_b64 s[2:3], s[0:1], s[2:3]
	v_addc_co_u32_e32 v6, vcc, 0, v6, vcc
	s_andn2_b64 exec, exec, s[2:3]
	s_cbranch_execnz .LBB28_65
.LBB28_66:
	s_or_b64 exec, exec, s[6:7]
	ds_read_b32 v1, v9 offset:24
	s_waitcnt lgkmcnt(0)
	v_cmp_ne_u32_e32 vcc, 0, v1
	s_cbranch_vccnz .LBB28_75
.LBB28_67:
	s_or_b32 s2, s4, 6
	s_mov_b32 s3, 0
	v_mov_b32_e32 v1, s2
	v_mov_b32_e32 v2, s3
	v_cmp_le_i64_e32 vcc, s[8:9], v[1:2]
	v_cmp_gt_i64_e64 s[0:1], s[8:9], v[1:2]
	v_mov_b32_e32 v1, 0
	v_mov_b32_e32 v3, 0
	;; [unrolled: 1-line block ×4, first 2 shown]
	s_cbranch_vccnz .LBB28_69
; %bb.68:
	s_lshl_b64 s[6:7], s[4:5], 3
	s_add_u32 s6, s10, s6
	s_addc_u32 s7, s11, s7
	v_mov_b32_e32 v3, 0
	global_load_dwordx2 v[3:4], v3, s[6:7] offset:48
	s_waitcnt vmcnt(0)
	v_subrev_co_u32_e32 v3, vcc, s20, v3
	v_subbrev_co_u32_e32 v4, vcc, 0, v4, vcc
.LBB28_69:
	s_andn2_b64 vcc, exec, s[0:1]
	s_cbranch_vccnz .LBB28_71
; %bb.70:
	s_lshl_b64 s[0:1], s[4:5], 3
	s_add_u32 s0, s12, s0
	s_addc_u32 s1, s13, s1
	v_mov_b32_e32 v1, 0
	global_load_dwordx2 v[1:2], v1, s[0:1] offset:48
	s_waitcnt vmcnt(0)
	v_subrev_co_u32_e32 v1, vcc, s20, v1
	v_subbrev_co_u32_e32 v2, vcc, 0, v2, vcc
.LBB28_71:
	v_add_co_u32_e32 v3, vcc, v3, v0
	v_addc_co_u32_e32 v4, vcc, 0, v4, vcc
	v_cmp_lt_i64_e32 vcc, v[3:4], v[1:2]
	s_and_saveexec_b64 s[6:7], vcc
	s_cbranch_execz .LBB28_74
; %bb.72:
	v_lshlrev_b64 v[5:6], 3, v[3:4]
	s_add_u32 s0, s2, s20
	s_addc_u32 s1, 0, 0
	v_mov_b32_e32 v7, s15
	v_add_co_u32_e32 v5, vcc, s14, v5
	v_addc_co_u32_e32 v6, vcc, v7, v6, vcc
	v_mov_b32_e32 v8, s1
	s_mov_b64 s[2:3], 0
	v_mov_b32_e32 v7, s0
.LBB28_73:                              ; =>This Inner Loop Header: Depth=1
	v_add_co_u32_e32 v3, vcc, 0x100, v3
	v_addc_co_u32_e32 v4, vcc, 0, v4, vcc
	v_cmp_ge_i64_e64 s[0:1], v[3:4], v[1:2]
	global_store_dwordx2 v[5:6], v[7:8], off
	v_add_co_u32_e32 v5, vcc, 0x800, v5
	s_or_b64 s[2:3], s[0:1], s[2:3]
	v_addc_co_u32_e32 v6, vcc, 0, v6, vcc
	s_andn2_b64 exec, exec, s[2:3]
	s_cbranch_execnz .LBB28_73
.LBB28_74:
	s_or_b64 exec, exec, s[6:7]
.LBB28_75:
	v_mov_b32_e32 v1, 0
	ds_read_b32 v1, v1 offset:28
	s_mov_b32 s3, 0
	s_waitcnt lgkmcnt(0)
	v_cmp_ne_u32_e32 vcc, 0, v1
	s_cbranch_vccnz .LBB28_83
; %bb.76:
	s_or_b32 s2, s4, 7
	v_mov_b32_e32 v1, s2
	v_mov_b32_e32 v2, s3
	v_cmp_le_i64_e32 vcc, s[8:9], v[1:2]
	v_cmp_gt_i64_e64 s[0:1], s[8:9], v[1:2]
	v_mov_b32_e32 v1, 0
	v_mov_b32_e32 v3, 0
	;; [unrolled: 1-line block ×4, first 2 shown]
	s_cbranch_vccnz .LBB28_78
; %bb.77:
	s_lshl_b64 s[6:7], s[4:5], 3
	s_add_u32 s6, s10, s6
	s_addc_u32 s7, s11, s7
	v_mov_b32_e32 v3, 0
	global_load_dwordx2 v[3:4], v3, s[6:7] offset:56
	s_waitcnt vmcnt(0)
	v_subrev_co_u32_e32 v3, vcc, s20, v3
	v_subbrev_co_u32_e32 v4, vcc, 0, v4, vcc
.LBB28_78:
	s_andn2_b64 vcc, exec, s[0:1]
	s_cbranch_vccnz .LBB28_80
; %bb.79:
	s_lshl_b64 s[0:1], s[4:5], 3
	s_add_u32 s0, s12, s0
	s_addc_u32 s1, s13, s1
	v_mov_b32_e32 v1, 0
	global_load_dwordx2 v[1:2], v1, s[0:1] offset:56
	s_waitcnt vmcnt(0)
	v_subrev_co_u32_e32 v1, vcc, s20, v1
	v_subbrev_co_u32_e32 v2, vcc, 0, v2, vcc
.LBB28_80:
	v_add_co_u32_e32 v3, vcc, v3, v0
	v_addc_co_u32_e32 v4, vcc, 0, v4, vcc
	v_cmp_lt_i64_e32 vcc, v[3:4], v[1:2]
	s_and_saveexec_b64 s[0:1], vcc
	s_cbranch_execz .LBB28_83
; %bb.81:
	s_add_u32 s0, s2, s20
	v_lshlrev_b64 v[5:6], 3, v[3:4]
	s_addc_u32 s1, 0, 0
	v_mov_b32_e32 v0, s15
	v_add_co_u32_e32 v5, vcc, s14, v5
	v_mov_b32_e32 v8, s1
	v_addc_co_u32_e32 v6, vcc, v0, v6, vcc
	s_mov_b64 s[2:3], 0
	v_mov_b32_e32 v7, s0
.LBB28_82:                              ; =>This Inner Loop Header: Depth=1
	v_add_co_u32_e32 v3, vcc, 0x100, v3
	v_addc_co_u32_e32 v4, vcc, 0, v4, vcc
	v_cmp_ge_i64_e64 s[0:1], v[3:4], v[1:2]
	global_store_dwordx2 v[5:6], v[7:8], off
	v_add_co_u32_e32 v5, vcc, 0x800, v5
	s_or_b64 s[2:3], s[0:1], s[2:3]
	v_addc_co_u32_e32 v6, vcc, 0, v6, vcc
	s_andn2_b64 exec, exec, s[2:3]
	s_cbranch_execnz .LBB28_82
.LBB28_83:
	s_endpgm
	.section	.rodata,"a",@progbits
	.p2align	6, 0x0
	.amdhsa_kernel _ZN9rocsparseL14csr2coo_kernelILj256ELj32EllEEvT2_PKT1_S4_PS1_21rocsparse_index_base_
		.amdhsa_group_segment_fixed_size 36
		.amdhsa_private_segment_fixed_size 0
		.amdhsa_kernarg_size 36
		.amdhsa_user_sgpr_count 6
		.amdhsa_user_sgpr_private_segment_buffer 1
		.amdhsa_user_sgpr_dispatch_ptr 0
		.amdhsa_user_sgpr_queue_ptr 0
		.amdhsa_user_sgpr_kernarg_segment_ptr 1
		.amdhsa_user_sgpr_dispatch_id 0
		.amdhsa_user_sgpr_flat_scratch_init 0
		.amdhsa_user_sgpr_private_segment_size 0
		.amdhsa_uses_dynamic_stack 0
		.amdhsa_system_sgpr_private_segment_wavefront_offset 0
		.amdhsa_system_sgpr_workgroup_id_x 1
		.amdhsa_system_sgpr_workgroup_id_y 0
		.amdhsa_system_sgpr_workgroup_id_z 0
		.amdhsa_system_sgpr_workgroup_info 0
		.amdhsa_system_vgpr_workitem_id 0
		.amdhsa_next_free_vgpr 10
		.amdhsa_next_free_sgpr 21
		.amdhsa_reserve_vcc 1
		.amdhsa_reserve_flat_scratch 0
		.amdhsa_float_round_mode_32 0
		.amdhsa_float_round_mode_16_64 0
		.amdhsa_float_denorm_mode_32 3
		.amdhsa_float_denorm_mode_16_64 3
		.amdhsa_dx10_clamp 1
		.amdhsa_ieee_mode 1
		.amdhsa_fp16_overflow 0
		.amdhsa_exception_fp_ieee_invalid_op 0
		.amdhsa_exception_fp_denorm_src 0
		.amdhsa_exception_fp_ieee_div_zero 0
		.amdhsa_exception_fp_ieee_overflow 0
		.amdhsa_exception_fp_ieee_underflow 0
		.amdhsa_exception_fp_ieee_inexact 0
		.amdhsa_exception_int_div_zero 0
	.end_amdhsa_kernel
	.section	.text._ZN9rocsparseL14csr2coo_kernelILj256ELj32EllEEvT2_PKT1_S4_PS1_21rocsparse_index_base_,"axG",@progbits,_ZN9rocsparseL14csr2coo_kernelILj256ELj32EllEEvT2_PKT1_S4_PS1_21rocsparse_index_base_,comdat
.Lfunc_end28:
	.size	_ZN9rocsparseL14csr2coo_kernelILj256ELj32EllEEvT2_PKT1_S4_PS1_21rocsparse_index_base_, .Lfunc_end28-_ZN9rocsparseL14csr2coo_kernelILj256ELj32EllEEvT2_PKT1_S4_PS1_21rocsparse_index_base_
                                        ; -- End function
	.set _ZN9rocsparseL14csr2coo_kernelILj256ELj32EllEEvT2_PKT1_S4_PS1_21rocsparse_index_base_.num_vgpr, 10
	.set _ZN9rocsparseL14csr2coo_kernelILj256ELj32EllEEvT2_PKT1_S4_PS1_21rocsparse_index_base_.num_agpr, 0
	.set _ZN9rocsparseL14csr2coo_kernelILj256ELj32EllEEvT2_PKT1_S4_PS1_21rocsparse_index_base_.numbered_sgpr, 21
	.set _ZN9rocsparseL14csr2coo_kernelILj256ELj32EllEEvT2_PKT1_S4_PS1_21rocsparse_index_base_.num_named_barrier, 0
	.set _ZN9rocsparseL14csr2coo_kernelILj256ELj32EllEEvT2_PKT1_S4_PS1_21rocsparse_index_base_.private_seg_size, 0
	.set _ZN9rocsparseL14csr2coo_kernelILj256ELj32EllEEvT2_PKT1_S4_PS1_21rocsparse_index_base_.uses_vcc, 1
	.set _ZN9rocsparseL14csr2coo_kernelILj256ELj32EllEEvT2_PKT1_S4_PS1_21rocsparse_index_base_.uses_flat_scratch, 0
	.set _ZN9rocsparseL14csr2coo_kernelILj256ELj32EllEEvT2_PKT1_S4_PS1_21rocsparse_index_base_.has_dyn_sized_stack, 0
	.set _ZN9rocsparseL14csr2coo_kernelILj256ELj32EllEEvT2_PKT1_S4_PS1_21rocsparse_index_base_.has_recursion, 0
	.set _ZN9rocsparseL14csr2coo_kernelILj256ELj32EllEEvT2_PKT1_S4_PS1_21rocsparse_index_base_.has_indirect_call, 0
	.section	.AMDGPU.csdata,"",@progbits
; Kernel info:
; codeLenInByte = 2616
; TotalNumSgprs: 25
; NumVgprs: 10
; ScratchSize: 0
; MemoryBound: 0
; FloatMode: 240
; IeeeMode: 1
; LDSByteSize: 36 bytes/workgroup (compile time only)
; SGPRBlocks: 3
; VGPRBlocks: 2
; NumSGPRsForWavesPerEU: 25
; NumVGPRsForWavesPerEU: 10
; Occupancy: 10
; WaveLimiterHint : 0
; COMPUTE_PGM_RSRC2:SCRATCH_EN: 0
; COMPUTE_PGM_RSRC2:USER_SGPR: 6
; COMPUTE_PGM_RSRC2:TRAP_HANDLER: 0
; COMPUTE_PGM_RSRC2:TGID_X_EN: 1
; COMPUTE_PGM_RSRC2:TGID_Y_EN: 0
; COMPUTE_PGM_RSRC2:TGID_Z_EN: 0
; COMPUTE_PGM_RSRC2:TIDIG_COMP_CNT: 0
	.section	.text._ZN9rocsparseL14csr2coo_kernelILj256ELj64EllEEvT2_PKT1_S4_PS1_21rocsparse_index_base_,"axG",@progbits,_ZN9rocsparseL14csr2coo_kernelILj256ELj64EllEEvT2_PKT1_S4_PS1_21rocsparse_index_base_,comdat
	.globl	_ZN9rocsparseL14csr2coo_kernelILj256ELj64EllEEvT2_PKT1_S4_PS1_21rocsparse_index_base_ ; -- Begin function _ZN9rocsparseL14csr2coo_kernelILj256ELj64EllEEvT2_PKT1_S4_PS1_21rocsparse_index_base_
	.p2align	8
	.type	_ZN9rocsparseL14csr2coo_kernelILj256ELj64EllEEvT2_PKT1_S4_PS1_21rocsparse_index_base_,@function
_ZN9rocsparseL14csr2coo_kernelILj256ELj64EllEEvT2_PKT1_S4_PS1_21rocsparse_index_base_: ; @_ZN9rocsparseL14csr2coo_kernelILj256ELj64EllEEvT2_PKT1_S4_PS1_21rocsparse_index_base_
; %bb.0:
	s_load_dwordx8 s[8:15], s[4:5], 0x0
	s_load_dword s20, s[4:5], 0x20
	v_lshrrev_b32_e32 v1, 6, v0
	s_lshl_b32 s4, s6, 2
	v_mov_b32_e32 v4, 0
	v_mov_b32_e32 v2, 1
	v_or_b32_e32 v3, s4, v1
	ds_write_b32 v4, v2 offset:16
	s_waitcnt lgkmcnt(0)
	v_cmp_gt_i64_e32 vcc, s[8:9], v[3:4]
	v_mov_b32_e32 v1, 0
	v_lshlrev_b64 v[7:8], 3, v[3:4]
	v_mov_b32_e32 v5, 0
	s_mov_b32 s5, 0
	v_mov_b32_e32 v2, 0
	v_mov_b32_e32 v6, 0
	s_barrier
	s_and_saveexec_b64 s[2:3], vcc
	s_cbranch_execz .LBB29_2
; %bb.1:
	v_mov_b32_e32 v5, s11
	v_add_co_u32_e64 v4, s[0:1], s10, v7
	v_addc_co_u32_e64 v5, s[0:1], v5, v8, s[0:1]
	global_load_dwordx2 v[5:6], v[4:5], off
	s_waitcnt vmcnt(0)
	v_subrev_co_u32_e64 v5, s[0:1], s20, v5
	v_subbrev_co_u32_e64 v6, s[0:1], 0, v6, s[0:1]
.LBB29_2:
	s_or_b64 exec, exec, s[2:3]
	s_and_saveexec_b64 s[0:1], vcc
	s_cbranch_execz .LBB29_4
; %bb.3:
	v_mov_b32_e32 v2, s13
	v_add_co_u32_e32 v1, vcc, s12, v7
	v_addc_co_u32_e32 v2, vcc, v2, v8, vcc
	global_load_dwordx2 v[1:2], v[1:2], off
	s_waitcnt vmcnt(0)
	v_subrev_co_u32_e32 v1, vcc, s20, v1
	v_subbrev_co_u32_e32 v2, vcc, 0, v2, vcc
.LBB29_4:
	s_or_b64 exec, exec, s[0:1]
	v_sub_co_u32_e32 v7, vcc, v1, v5
	v_subb_co_u32_e32 v8, vcc, v2, v6, vcc
	s_mov_b64 s[0:1], 0x201
	s_mov_b64 s[2:3], 0x200
	v_cmp_gt_i64_e64 s[0:1], s[0:1], v[7:8]
	v_cmp_lt_i64_e32 vcc, s[2:3], v[7:8]
	s_and_saveexec_b64 s[2:3], vcc
	s_xor_b64 s[2:3], exec, s[2:3]
; %bb.5:
	v_mov_b32_e32 v1, 0
	ds_write_b32 v1, v1 offset:16
                                        ; implicit-def: $vgpr5_vgpr6
                                        ; implicit-def: $vgpr1_vgpr2
                                        ; implicit-def: $vgpr3_vgpr4
; %bb.6:
	s_andn2_saveexec_b64 s[6:7], s[2:3]
	s_cbranch_execz .LBB29_11
; %bb.7:
	v_and_b32_e32 v4, 63, v0
	v_add_co_u32_e32 v4, vcc, v5, v4
	v_addc_co_u32_e32 v5, vcc, 0, v6, vcc
	v_cmp_lt_i64_e32 vcc, v[4:5], v[1:2]
	s_and_saveexec_b64 s[16:17], vcc
	s_cbranch_execz .LBB29_10
; %bb.8:
	v_lshlrev_b64 v[8:9], 3, v[4:5]
	v_add_co_u32_e32 v6, vcc, s20, v3
	v_addc_co_u32_e64 v7, s[2:3], 0, 0, vcc
	v_mov_b32_e32 v3, s15
	v_add_co_u32_e32 v8, vcc, s14, v8
	v_addc_co_u32_e32 v9, vcc, v3, v9, vcc
	s_mov_b64 s[18:19], 0
.LBB29_9:                               ; =>This Inner Loop Header: Depth=1
	v_add_co_u32_e32 v4, vcc, 64, v4
	v_addc_co_u32_e32 v5, vcc, 0, v5, vcc
	v_cmp_ge_i64_e64 s[2:3], v[4:5], v[1:2]
	global_store_dwordx2 v[8:9], v[6:7], off
	v_add_co_u32_e32 v8, vcc, 0x200, v8
	s_or_b64 s[18:19], s[2:3], s[18:19]
	v_addc_co_u32_e32 v9, vcc, 0, v9, vcc
	s_andn2_b64 exec, exec, s[18:19]
	s_cbranch_execnz .LBB29_9
.LBB29_10:
	s_or_b64 exec, exec, s[16:17]
.LBB29_11:
	s_or_b64 exec, exec, s[6:7]
	v_lshrrev_b32_e32 v2, 4, v0
	v_cndmask_b32_e64 v1, 0, 1, s[0:1]
	v_and_b32_e32 v2, 12, v2
	ds_write_b32 v2, v1
	v_mov_b32_e32 v1, 0
	s_waitcnt vmcnt(0) lgkmcnt(0)
	s_barrier
	ds_read_b32 v2, v1 offset:16
	s_waitcnt lgkmcnt(0)
	v_cmp_ne_u32_e32 vcc, 0, v2
	s_cbranch_vccnz .LBB29_47
; %bb.12:
	ds_read_b32 v1, v1
	s_waitcnt lgkmcnt(0)
	v_cmp_ne_u32_e32 vcc, 0, v1
	s_cbranch_vccnz .LBB29_21
; %bb.13:
	v_mov_b32_e32 v1, s4
	v_mov_b32_e32 v2, s5
	v_cmp_le_i64_e32 vcc, s[8:9], v[1:2]
	v_cmp_gt_i64_e64 s[0:1], s[8:9], v[1:2]
	v_mov_b32_e32 v1, 0
	v_mov_b32_e32 v3, 0
	;; [unrolled: 1-line block ×4, first 2 shown]
	s_cbranch_vccnz .LBB29_15
; %bb.14:
	s_lshl_b64 s[2:3], s[4:5], 3
	s_add_u32 s2, s10, s2
	s_addc_u32 s3, s11, s3
	v_mov_b32_e32 v3, 0
	global_load_dwordx2 v[3:4], v3, s[2:3]
	s_waitcnt vmcnt(0)
	v_subrev_co_u32_e32 v3, vcc, s20, v3
	v_subbrev_co_u32_e32 v4, vcc, 0, v4, vcc
.LBB29_15:
	s_andn2_b64 vcc, exec, s[0:1]
	s_cbranch_vccnz .LBB29_17
; %bb.16:
	s_lshl_b64 s[0:1], s[4:5], 3
	s_add_u32 s0, s12, s0
	s_addc_u32 s1, s13, s1
	v_mov_b32_e32 v1, 0
	global_load_dwordx2 v[1:2], v1, s[0:1]
	s_waitcnt vmcnt(0)
	v_subrev_co_u32_e32 v1, vcc, s20, v1
	v_subbrev_co_u32_e32 v2, vcc, 0, v2, vcc
.LBB29_17:
	v_add_co_u32_e32 v3, vcc, v3, v0
	v_addc_co_u32_e32 v4, vcc, 0, v4, vcc
	v_cmp_lt_i64_e32 vcc, v[3:4], v[1:2]
	s_and_saveexec_b64 s[2:3], vcc
	s_cbranch_execz .LBB29_20
; %bb.18:
	v_lshlrev_b64 v[5:6], 3, v[3:4]
	s_add_u32 s0, s4, s20
	s_addc_u32 s1, 0, 0
	v_mov_b32_e32 v7, s15
	v_add_co_u32_e32 v5, vcc, s14, v5
	v_addc_co_u32_e32 v6, vcc, v7, v6, vcc
	v_mov_b32_e32 v8, s1
	s_mov_b64 s[6:7], 0
	v_mov_b32_e32 v7, s0
.LBB29_19:                              ; =>This Inner Loop Header: Depth=1
	v_add_co_u32_e32 v3, vcc, 0x100, v3
	v_addc_co_u32_e32 v4, vcc, 0, v4, vcc
	v_cmp_ge_i64_e64 s[0:1], v[3:4], v[1:2]
	global_store_dwordx2 v[5:6], v[7:8], off
	v_add_co_u32_e32 v5, vcc, 0x800, v5
	s_or_b64 s[6:7], s[0:1], s[6:7]
	v_addc_co_u32_e32 v6, vcc, 0, v6, vcc
	s_andn2_b64 exec, exec, s[6:7]
	s_cbranch_execnz .LBB29_19
.LBB29_20:
	s_or_b64 exec, exec, s[2:3]
.LBB29_21:
	v_mov_b32_e32 v9, 0
	ds_read_b32 v1, v9 offset:4
	s_mov_b32 s3, 0
	s_waitcnt lgkmcnt(0)
	v_cmp_ne_u32_e32 vcc, 0, v1
	s_cbranch_vccz .LBB29_23
; %bb.22:
	ds_read_b32 v1, v9 offset:8
	s_waitcnt lgkmcnt(0)
	v_cmp_ne_u32_e32 vcc, 0, v1
	s_cbranch_vccnz .LBB29_39
	s_branch .LBB29_31
.LBB29_23:
	s_or_b32 s2, s4, 1
	v_mov_b32_e32 v1, s2
	v_mov_b32_e32 v2, s3
	v_cmp_le_i64_e32 vcc, s[8:9], v[1:2]
	v_cmp_gt_i64_e64 s[0:1], s[8:9], v[1:2]
	v_mov_b32_e32 v1, 0
	v_mov_b32_e32 v3, 0
	;; [unrolled: 1-line block ×4, first 2 shown]
	s_cbranch_vccnz .LBB29_25
; %bb.24:
	s_lshl_b64 s[6:7], s[4:5], 3
	s_add_u32 s6, s10, s6
	s_addc_u32 s7, s11, s7
	v_mov_b32_e32 v3, 0
	global_load_dwordx2 v[3:4], v3, s[6:7] offset:8
	s_waitcnt vmcnt(0)
	v_subrev_co_u32_e32 v3, vcc, s20, v3
	v_subbrev_co_u32_e32 v4, vcc, 0, v4, vcc
.LBB29_25:
	s_andn2_b64 vcc, exec, s[0:1]
	s_cbranch_vccnz .LBB29_27
; %bb.26:
	s_lshl_b64 s[0:1], s[4:5], 3
	s_add_u32 s0, s12, s0
	s_addc_u32 s1, s13, s1
	v_mov_b32_e32 v1, 0
	global_load_dwordx2 v[1:2], v1, s[0:1] offset:8
	s_waitcnt vmcnt(0)
	v_subrev_co_u32_e32 v1, vcc, s20, v1
	v_subbrev_co_u32_e32 v2, vcc, 0, v2, vcc
.LBB29_27:
	v_add_co_u32_e32 v3, vcc, v3, v0
	v_addc_co_u32_e32 v4, vcc, 0, v4, vcc
	v_cmp_lt_i64_e32 vcc, v[3:4], v[1:2]
	s_and_saveexec_b64 s[6:7], vcc
	s_cbranch_execz .LBB29_30
; %bb.28:
	v_lshlrev_b64 v[5:6], 3, v[3:4]
	s_add_u32 s0, s2, s20
	s_addc_u32 s1, 0, 0
	v_mov_b32_e32 v7, s15
	v_add_co_u32_e32 v5, vcc, s14, v5
	v_addc_co_u32_e32 v6, vcc, v7, v6, vcc
	v_mov_b32_e32 v8, s1
	s_mov_b64 s[2:3], 0
	v_mov_b32_e32 v7, s0
.LBB29_29:                              ; =>This Inner Loop Header: Depth=1
	v_add_co_u32_e32 v3, vcc, 0x100, v3
	v_addc_co_u32_e32 v4, vcc, 0, v4, vcc
	v_cmp_ge_i64_e64 s[0:1], v[3:4], v[1:2]
	global_store_dwordx2 v[5:6], v[7:8], off
	v_add_co_u32_e32 v5, vcc, 0x800, v5
	s_or_b64 s[2:3], s[0:1], s[2:3]
	v_addc_co_u32_e32 v6, vcc, 0, v6, vcc
	s_andn2_b64 exec, exec, s[2:3]
	s_cbranch_execnz .LBB29_29
.LBB29_30:
	s_or_b64 exec, exec, s[6:7]
	ds_read_b32 v1, v9 offset:8
	s_waitcnt lgkmcnt(0)
	v_cmp_ne_u32_e32 vcc, 0, v1
	s_cbranch_vccnz .LBB29_39
.LBB29_31:
	s_or_b32 s2, s4, 2
	s_mov_b32 s3, 0
	v_mov_b32_e32 v1, s2
	v_mov_b32_e32 v2, s3
	v_cmp_le_i64_e32 vcc, s[8:9], v[1:2]
	v_cmp_gt_i64_e64 s[0:1], s[8:9], v[1:2]
	v_mov_b32_e32 v1, 0
	v_mov_b32_e32 v3, 0
	;; [unrolled: 1-line block ×4, first 2 shown]
	s_cbranch_vccnz .LBB29_33
; %bb.32:
	s_lshl_b64 s[6:7], s[4:5], 3
	s_add_u32 s6, s10, s6
	s_addc_u32 s7, s11, s7
	v_mov_b32_e32 v3, 0
	global_load_dwordx2 v[3:4], v3, s[6:7] offset:16
	s_waitcnt vmcnt(0)
	v_subrev_co_u32_e32 v3, vcc, s20, v3
	v_subbrev_co_u32_e32 v4, vcc, 0, v4, vcc
.LBB29_33:
	s_andn2_b64 vcc, exec, s[0:1]
	s_cbranch_vccnz .LBB29_35
; %bb.34:
	s_lshl_b64 s[0:1], s[4:5], 3
	s_add_u32 s0, s12, s0
	s_addc_u32 s1, s13, s1
	v_mov_b32_e32 v1, 0
	global_load_dwordx2 v[1:2], v1, s[0:1] offset:16
	s_waitcnt vmcnt(0)
	v_subrev_co_u32_e32 v1, vcc, s20, v1
	v_subbrev_co_u32_e32 v2, vcc, 0, v2, vcc
.LBB29_35:
	v_add_co_u32_e32 v3, vcc, v3, v0
	v_addc_co_u32_e32 v4, vcc, 0, v4, vcc
	v_cmp_lt_i64_e32 vcc, v[3:4], v[1:2]
	s_and_saveexec_b64 s[6:7], vcc
	s_cbranch_execz .LBB29_38
; %bb.36:
	v_lshlrev_b64 v[5:6], 3, v[3:4]
	s_add_u32 s0, s2, s20
	s_addc_u32 s1, 0, 0
	v_mov_b32_e32 v7, s15
	v_add_co_u32_e32 v5, vcc, s14, v5
	v_addc_co_u32_e32 v6, vcc, v7, v6, vcc
	v_mov_b32_e32 v8, s1
	s_mov_b64 s[2:3], 0
	v_mov_b32_e32 v7, s0
.LBB29_37:                              ; =>This Inner Loop Header: Depth=1
	v_add_co_u32_e32 v3, vcc, 0x100, v3
	v_addc_co_u32_e32 v4, vcc, 0, v4, vcc
	v_cmp_ge_i64_e64 s[0:1], v[3:4], v[1:2]
	global_store_dwordx2 v[5:6], v[7:8], off
	v_add_co_u32_e32 v5, vcc, 0x800, v5
	s_or_b64 s[2:3], s[0:1], s[2:3]
	v_addc_co_u32_e32 v6, vcc, 0, v6, vcc
	s_andn2_b64 exec, exec, s[2:3]
	s_cbranch_execnz .LBB29_37
.LBB29_38:
	s_or_b64 exec, exec, s[6:7]
.LBB29_39:
	v_mov_b32_e32 v1, 0
	ds_read_b32 v1, v1 offset:12
	s_mov_b32 s3, 0
	s_waitcnt lgkmcnt(0)
	v_cmp_ne_u32_e32 vcc, 0, v1
	s_cbranch_vccnz .LBB29_47
; %bb.40:
	s_or_b32 s2, s4, 3
	v_mov_b32_e32 v1, s2
	v_mov_b32_e32 v2, s3
	v_cmp_le_i64_e32 vcc, s[8:9], v[1:2]
	v_cmp_gt_i64_e64 s[0:1], s[8:9], v[1:2]
	v_mov_b32_e32 v1, 0
	v_mov_b32_e32 v3, 0
	v_mov_b32_e32 v2, 0
	v_mov_b32_e32 v4, 0
	s_cbranch_vccnz .LBB29_42
; %bb.41:
	s_lshl_b64 s[6:7], s[4:5], 3
	s_add_u32 s6, s10, s6
	s_addc_u32 s7, s11, s7
	v_mov_b32_e32 v3, 0
	global_load_dwordx2 v[3:4], v3, s[6:7] offset:24
	s_waitcnt vmcnt(0)
	v_subrev_co_u32_e32 v3, vcc, s20, v3
	v_subbrev_co_u32_e32 v4, vcc, 0, v4, vcc
.LBB29_42:
	s_andn2_b64 vcc, exec, s[0:1]
	s_cbranch_vccnz .LBB29_44
; %bb.43:
	s_lshl_b64 s[0:1], s[4:5], 3
	s_add_u32 s0, s12, s0
	s_addc_u32 s1, s13, s1
	v_mov_b32_e32 v1, 0
	global_load_dwordx2 v[1:2], v1, s[0:1] offset:24
	s_waitcnt vmcnt(0)
	v_subrev_co_u32_e32 v1, vcc, s20, v1
	v_subbrev_co_u32_e32 v2, vcc, 0, v2, vcc
.LBB29_44:
	v_add_co_u32_e32 v3, vcc, v3, v0
	v_addc_co_u32_e32 v4, vcc, 0, v4, vcc
	v_cmp_lt_i64_e32 vcc, v[3:4], v[1:2]
	s_and_saveexec_b64 s[0:1], vcc
	s_cbranch_execz .LBB29_47
; %bb.45:
	s_add_u32 s0, s2, s20
	v_lshlrev_b64 v[5:6], 3, v[3:4]
	s_addc_u32 s1, 0, 0
	v_mov_b32_e32 v0, s15
	v_add_co_u32_e32 v5, vcc, s14, v5
	v_mov_b32_e32 v8, s1
	v_addc_co_u32_e32 v6, vcc, v0, v6, vcc
	s_mov_b64 s[2:3], 0
	v_mov_b32_e32 v7, s0
.LBB29_46:                              ; =>This Inner Loop Header: Depth=1
	v_add_co_u32_e32 v3, vcc, 0x100, v3
	v_addc_co_u32_e32 v4, vcc, 0, v4, vcc
	v_cmp_ge_i64_e64 s[0:1], v[3:4], v[1:2]
	global_store_dwordx2 v[5:6], v[7:8], off
	v_add_co_u32_e32 v5, vcc, 0x800, v5
	s_or_b64 s[2:3], s[0:1], s[2:3]
	v_addc_co_u32_e32 v6, vcc, 0, v6, vcc
	s_andn2_b64 exec, exec, s[2:3]
	s_cbranch_execnz .LBB29_46
.LBB29_47:
	s_endpgm
	.section	.rodata,"a",@progbits
	.p2align	6, 0x0
	.amdhsa_kernel _ZN9rocsparseL14csr2coo_kernelILj256ELj64EllEEvT2_PKT1_S4_PS1_21rocsparse_index_base_
		.amdhsa_group_segment_fixed_size 20
		.amdhsa_private_segment_fixed_size 0
		.amdhsa_kernarg_size 36
		.amdhsa_user_sgpr_count 6
		.amdhsa_user_sgpr_private_segment_buffer 1
		.amdhsa_user_sgpr_dispatch_ptr 0
		.amdhsa_user_sgpr_queue_ptr 0
		.amdhsa_user_sgpr_kernarg_segment_ptr 1
		.amdhsa_user_sgpr_dispatch_id 0
		.amdhsa_user_sgpr_flat_scratch_init 0
		.amdhsa_user_sgpr_private_segment_size 0
		.amdhsa_uses_dynamic_stack 0
		.amdhsa_system_sgpr_private_segment_wavefront_offset 0
		.amdhsa_system_sgpr_workgroup_id_x 1
		.amdhsa_system_sgpr_workgroup_id_y 0
		.amdhsa_system_sgpr_workgroup_id_z 0
		.amdhsa_system_sgpr_workgroup_info 0
		.amdhsa_system_vgpr_workitem_id 0
		.amdhsa_next_free_vgpr 10
		.amdhsa_next_free_sgpr 21
		.amdhsa_reserve_vcc 1
		.amdhsa_reserve_flat_scratch 0
		.amdhsa_float_round_mode_32 0
		.amdhsa_float_round_mode_16_64 0
		.amdhsa_float_denorm_mode_32 3
		.amdhsa_float_denorm_mode_16_64 3
		.amdhsa_dx10_clamp 1
		.amdhsa_ieee_mode 1
		.amdhsa_fp16_overflow 0
		.amdhsa_exception_fp_ieee_invalid_op 0
		.amdhsa_exception_fp_denorm_src 0
		.amdhsa_exception_fp_ieee_div_zero 0
		.amdhsa_exception_fp_ieee_overflow 0
		.amdhsa_exception_fp_ieee_underflow 0
		.amdhsa_exception_fp_ieee_inexact 0
		.amdhsa_exception_int_div_zero 0
	.end_amdhsa_kernel
	.section	.text._ZN9rocsparseL14csr2coo_kernelILj256ELj64EllEEvT2_PKT1_S4_PS1_21rocsparse_index_base_,"axG",@progbits,_ZN9rocsparseL14csr2coo_kernelILj256ELj64EllEEvT2_PKT1_S4_PS1_21rocsparse_index_base_,comdat
.Lfunc_end29:
	.size	_ZN9rocsparseL14csr2coo_kernelILj256ELj64EllEEvT2_PKT1_S4_PS1_21rocsparse_index_base_, .Lfunc_end29-_ZN9rocsparseL14csr2coo_kernelILj256ELj64EllEEvT2_PKT1_S4_PS1_21rocsparse_index_base_
                                        ; -- End function
	.set _ZN9rocsparseL14csr2coo_kernelILj256ELj64EllEEvT2_PKT1_S4_PS1_21rocsparse_index_base_.num_vgpr, 10
	.set _ZN9rocsparseL14csr2coo_kernelILj256ELj64EllEEvT2_PKT1_S4_PS1_21rocsparse_index_base_.num_agpr, 0
	.set _ZN9rocsparseL14csr2coo_kernelILj256ELj64EllEEvT2_PKT1_S4_PS1_21rocsparse_index_base_.numbered_sgpr, 21
	.set _ZN9rocsparseL14csr2coo_kernelILj256ELj64EllEEvT2_PKT1_S4_PS1_21rocsparse_index_base_.num_named_barrier, 0
	.set _ZN9rocsparseL14csr2coo_kernelILj256ELj64EllEEvT2_PKT1_S4_PS1_21rocsparse_index_base_.private_seg_size, 0
	.set _ZN9rocsparseL14csr2coo_kernelILj256ELj64EllEEvT2_PKT1_S4_PS1_21rocsparse_index_base_.uses_vcc, 1
	.set _ZN9rocsparseL14csr2coo_kernelILj256ELj64EllEEvT2_PKT1_S4_PS1_21rocsparse_index_base_.uses_flat_scratch, 0
	.set _ZN9rocsparseL14csr2coo_kernelILj256ELj64EllEEvT2_PKT1_S4_PS1_21rocsparse_index_base_.has_dyn_sized_stack, 0
	.set _ZN9rocsparseL14csr2coo_kernelILj256ELj64EllEEvT2_PKT1_S4_PS1_21rocsparse_index_base_.has_recursion, 0
	.set _ZN9rocsparseL14csr2coo_kernelILj256ELj64EllEEvT2_PKT1_S4_PS1_21rocsparse_index_base_.has_indirect_call, 0
	.section	.AMDGPU.csdata,"",@progbits
; Kernel info:
; codeLenInByte = 1504
; TotalNumSgprs: 25
; NumVgprs: 10
; ScratchSize: 0
; MemoryBound: 0
; FloatMode: 240
; IeeeMode: 1
; LDSByteSize: 20 bytes/workgroup (compile time only)
; SGPRBlocks: 3
; VGPRBlocks: 2
; NumSGPRsForWavesPerEU: 25
; NumVGPRsForWavesPerEU: 10
; Occupancy: 10
; WaveLimiterHint : 0
; COMPUTE_PGM_RSRC2:SCRATCH_EN: 0
; COMPUTE_PGM_RSRC2:USER_SGPR: 6
; COMPUTE_PGM_RSRC2:TRAP_HANDLER: 0
; COMPUTE_PGM_RSRC2:TGID_X_EN: 1
; COMPUTE_PGM_RSRC2:TGID_Y_EN: 0
; COMPUTE_PGM_RSRC2:TGID_Z_EN: 0
; COMPUTE_PGM_RSRC2:TIDIG_COMP_CNT: 0
	.section	.text._ZN9rocsparseL14csr2coo_kernelILj256ELj128EllEEvT2_PKT1_S4_PS1_21rocsparse_index_base_,"axG",@progbits,_ZN9rocsparseL14csr2coo_kernelILj256ELj128EllEEvT2_PKT1_S4_PS1_21rocsparse_index_base_,comdat
	.globl	_ZN9rocsparseL14csr2coo_kernelILj256ELj128EllEEvT2_PKT1_S4_PS1_21rocsparse_index_base_ ; -- Begin function _ZN9rocsparseL14csr2coo_kernelILj256ELj128EllEEvT2_PKT1_S4_PS1_21rocsparse_index_base_
	.p2align	8
	.type	_ZN9rocsparseL14csr2coo_kernelILj256ELj128EllEEvT2_PKT1_S4_PS1_21rocsparse_index_base_,@function
_ZN9rocsparseL14csr2coo_kernelILj256ELj128EllEEvT2_PKT1_S4_PS1_21rocsparse_index_base_: ; @_ZN9rocsparseL14csr2coo_kernelILj256ELj128EllEEvT2_PKT1_S4_PS1_21rocsparse_index_base_
; %bb.0:
	s_load_dwordx8 s[8:15], s[4:5], 0x0
	s_load_dword s20, s[4:5], 0x20
	v_lshrrev_b32_e32 v1, 7, v0
	s_lshl_b32 s4, s6, 1
	v_mov_b32_e32 v4, 0
	v_mov_b32_e32 v2, 1
	v_or_b32_e32 v3, s4, v1
	ds_write_b32 v4, v2 offset:8
	s_waitcnt lgkmcnt(0)
	v_cmp_gt_i64_e32 vcc, s[8:9], v[3:4]
	v_mov_b32_e32 v1, 0
	v_lshlrev_b64 v[7:8], 3, v[3:4]
	v_mov_b32_e32 v5, 0
	s_mov_b32 s5, 0
	v_mov_b32_e32 v2, 0
	v_mov_b32_e32 v6, 0
	s_barrier
	s_and_saveexec_b64 s[2:3], vcc
	s_cbranch_execz .LBB30_2
; %bb.1:
	v_mov_b32_e32 v5, s11
	v_add_co_u32_e64 v4, s[0:1], s10, v7
	v_addc_co_u32_e64 v5, s[0:1], v5, v8, s[0:1]
	global_load_dwordx2 v[5:6], v[4:5], off
	s_waitcnt vmcnt(0)
	v_subrev_co_u32_e64 v5, s[0:1], s20, v5
	v_subbrev_co_u32_e64 v6, s[0:1], 0, v6, s[0:1]
.LBB30_2:
	s_or_b64 exec, exec, s[2:3]
	s_and_saveexec_b64 s[0:1], vcc
	s_cbranch_execz .LBB30_4
; %bb.3:
	v_mov_b32_e32 v2, s13
	v_add_co_u32_e32 v1, vcc, s12, v7
	v_addc_co_u32_e32 v2, vcc, v2, v8, vcc
	global_load_dwordx2 v[1:2], v[1:2], off
	s_waitcnt vmcnt(0)
	v_subrev_co_u32_e32 v1, vcc, s20, v1
	v_subbrev_co_u32_e32 v2, vcc, 0, v2, vcc
.LBB30_4:
	s_or_b64 exec, exec, s[0:1]
	v_sub_co_u32_e32 v7, vcc, v1, v5
	v_subb_co_u32_e32 v8, vcc, v2, v6, vcc
	s_mov_b64 s[0:1], 0x401
	s_mov_b64 s[2:3], 0x400
	v_cmp_gt_i64_e64 s[0:1], s[0:1], v[7:8]
	v_cmp_lt_i64_e32 vcc, s[2:3], v[7:8]
	s_and_saveexec_b64 s[2:3], vcc
	s_xor_b64 s[2:3], exec, s[2:3]
; %bb.5:
	v_mov_b32_e32 v1, 0
	ds_write_b32 v1, v1 offset:8
                                        ; implicit-def: $vgpr5_vgpr6
                                        ; implicit-def: $vgpr1_vgpr2
                                        ; implicit-def: $vgpr3_vgpr4
; %bb.6:
	s_andn2_saveexec_b64 s[6:7], s[2:3]
	s_cbranch_execz .LBB30_11
; %bb.7:
	v_and_b32_e32 v4, 0x7f, v0
	v_add_co_u32_e32 v4, vcc, v5, v4
	v_addc_co_u32_e32 v5, vcc, 0, v6, vcc
	v_cmp_lt_i64_e32 vcc, v[4:5], v[1:2]
	s_and_saveexec_b64 s[16:17], vcc
	s_cbranch_execz .LBB30_10
; %bb.8:
	v_lshlrev_b64 v[8:9], 3, v[4:5]
	v_add_co_u32_e32 v6, vcc, s20, v3
	v_addc_co_u32_e64 v7, s[2:3], 0, 0, vcc
	v_mov_b32_e32 v3, s15
	v_add_co_u32_e32 v8, vcc, s14, v8
	v_addc_co_u32_e32 v9, vcc, v3, v9, vcc
	s_mov_b64 s[18:19], 0
.LBB30_9:                               ; =>This Inner Loop Header: Depth=1
	v_add_co_u32_e32 v4, vcc, 0x80, v4
	v_addc_co_u32_e32 v5, vcc, 0, v5, vcc
	v_cmp_ge_i64_e64 s[2:3], v[4:5], v[1:2]
	global_store_dwordx2 v[8:9], v[6:7], off
	v_add_co_u32_e32 v8, vcc, 0x400, v8
	s_or_b64 s[18:19], s[2:3], s[18:19]
	v_addc_co_u32_e32 v9, vcc, 0, v9, vcc
	s_andn2_b64 exec, exec, s[18:19]
	s_cbranch_execnz .LBB30_9
.LBB30_10:
	s_or_b64 exec, exec, s[16:17]
.LBB30_11:
	s_or_b64 exec, exec, s[6:7]
	v_lshrrev_b32_e32 v2, 5, v0
	v_cndmask_b32_e64 v1, 0, 1, s[0:1]
	v_and_b32_e32 v2, 4, v2
	ds_write_b32 v2, v1
	v_mov_b32_e32 v1, 0
	s_waitcnt vmcnt(0) lgkmcnt(0)
	s_barrier
	ds_read_b32 v2, v1 offset:8
	s_waitcnt lgkmcnt(0)
	v_cmp_ne_u32_e32 vcc, 0, v2
	s_cbranch_vccnz .LBB30_29
; %bb.12:
	ds_read_b32 v1, v1
	s_waitcnt lgkmcnt(0)
	v_cmp_ne_u32_e32 vcc, 0, v1
	s_cbranch_vccnz .LBB30_21
; %bb.13:
	v_mov_b32_e32 v1, s4
	v_mov_b32_e32 v2, s5
	v_cmp_le_i64_e32 vcc, s[8:9], v[1:2]
	v_cmp_gt_i64_e64 s[0:1], s[8:9], v[1:2]
	v_mov_b32_e32 v1, 0
	v_mov_b32_e32 v3, 0
	;; [unrolled: 1-line block ×4, first 2 shown]
	s_cbranch_vccnz .LBB30_15
; %bb.14:
	s_lshl_b64 s[2:3], s[4:5], 3
	s_add_u32 s2, s10, s2
	s_addc_u32 s3, s11, s3
	v_mov_b32_e32 v3, 0
	global_load_dwordx2 v[3:4], v3, s[2:3]
	s_waitcnt vmcnt(0)
	v_subrev_co_u32_e32 v3, vcc, s20, v3
	v_subbrev_co_u32_e32 v4, vcc, 0, v4, vcc
.LBB30_15:
	s_andn2_b64 vcc, exec, s[0:1]
	s_cbranch_vccnz .LBB30_17
; %bb.16:
	s_lshl_b64 s[0:1], s[4:5], 3
	s_add_u32 s0, s12, s0
	s_addc_u32 s1, s13, s1
	v_mov_b32_e32 v1, 0
	global_load_dwordx2 v[1:2], v1, s[0:1]
	s_waitcnt vmcnt(0)
	v_subrev_co_u32_e32 v1, vcc, s20, v1
	v_subbrev_co_u32_e32 v2, vcc, 0, v2, vcc
.LBB30_17:
	v_add_co_u32_e32 v3, vcc, v3, v0
	v_addc_co_u32_e32 v4, vcc, 0, v4, vcc
	v_cmp_lt_i64_e32 vcc, v[3:4], v[1:2]
	s_and_saveexec_b64 s[2:3], vcc
	s_cbranch_execz .LBB30_20
; %bb.18:
	v_lshlrev_b64 v[5:6], 3, v[3:4]
	s_add_u32 s0, s4, s20
	s_addc_u32 s1, 0, 0
	v_mov_b32_e32 v7, s15
	v_add_co_u32_e32 v5, vcc, s14, v5
	v_addc_co_u32_e32 v6, vcc, v7, v6, vcc
	v_mov_b32_e32 v8, s1
	s_mov_b64 s[6:7], 0
	v_mov_b32_e32 v7, s0
.LBB30_19:                              ; =>This Inner Loop Header: Depth=1
	v_add_co_u32_e32 v3, vcc, 0x100, v3
	v_addc_co_u32_e32 v4, vcc, 0, v4, vcc
	v_cmp_ge_i64_e64 s[0:1], v[3:4], v[1:2]
	global_store_dwordx2 v[5:6], v[7:8], off
	v_add_co_u32_e32 v5, vcc, 0x800, v5
	s_or_b64 s[6:7], s[0:1], s[6:7]
	v_addc_co_u32_e32 v6, vcc, 0, v6, vcc
	s_andn2_b64 exec, exec, s[6:7]
	s_cbranch_execnz .LBB30_19
.LBB30_20:
	s_or_b64 exec, exec, s[2:3]
.LBB30_21:
	v_mov_b32_e32 v1, 0
	ds_read_b32 v1, v1 offset:4
	s_mov_b32 s3, 0
	s_waitcnt lgkmcnt(0)
	v_cmp_ne_u32_e32 vcc, 0, v1
	s_cbranch_vccnz .LBB30_29
; %bb.22:
	s_or_b32 s2, s4, 1
	v_mov_b32_e32 v1, s2
	v_mov_b32_e32 v2, s3
	v_cmp_le_i64_e32 vcc, s[8:9], v[1:2]
	v_cmp_gt_i64_e64 s[0:1], s[8:9], v[1:2]
	v_mov_b32_e32 v1, 0
	v_mov_b32_e32 v3, 0
	;; [unrolled: 1-line block ×4, first 2 shown]
	s_cbranch_vccnz .LBB30_24
; %bb.23:
	s_lshl_b64 s[6:7], s[4:5], 3
	s_add_u32 s6, s10, s6
	s_addc_u32 s7, s11, s7
	v_mov_b32_e32 v3, 0
	global_load_dwordx2 v[3:4], v3, s[6:7] offset:8
	s_waitcnt vmcnt(0)
	v_subrev_co_u32_e32 v3, vcc, s20, v3
	v_subbrev_co_u32_e32 v4, vcc, 0, v4, vcc
.LBB30_24:
	s_andn2_b64 vcc, exec, s[0:1]
	s_cbranch_vccnz .LBB30_26
; %bb.25:
	s_lshl_b64 s[0:1], s[4:5], 3
	s_add_u32 s0, s12, s0
	s_addc_u32 s1, s13, s1
	v_mov_b32_e32 v1, 0
	global_load_dwordx2 v[1:2], v1, s[0:1] offset:8
	s_waitcnt vmcnt(0)
	v_subrev_co_u32_e32 v1, vcc, s20, v1
	v_subbrev_co_u32_e32 v2, vcc, 0, v2, vcc
.LBB30_26:
	v_add_co_u32_e32 v3, vcc, v3, v0
	v_addc_co_u32_e32 v4, vcc, 0, v4, vcc
	v_cmp_lt_i64_e32 vcc, v[3:4], v[1:2]
	s_and_saveexec_b64 s[0:1], vcc
	s_cbranch_execz .LBB30_29
; %bb.27:
	s_add_u32 s0, s2, s20
	v_lshlrev_b64 v[5:6], 3, v[3:4]
	s_addc_u32 s1, 0, 0
	v_mov_b32_e32 v0, s15
	v_add_co_u32_e32 v5, vcc, s14, v5
	v_mov_b32_e32 v8, s1
	v_addc_co_u32_e32 v6, vcc, v0, v6, vcc
	s_mov_b64 s[2:3], 0
	v_mov_b32_e32 v7, s0
.LBB30_28:                              ; =>This Inner Loop Header: Depth=1
	v_add_co_u32_e32 v3, vcc, 0x100, v3
	v_addc_co_u32_e32 v4, vcc, 0, v4, vcc
	v_cmp_ge_i64_e64 s[0:1], v[3:4], v[1:2]
	global_store_dwordx2 v[5:6], v[7:8], off
	v_add_co_u32_e32 v5, vcc, 0x800, v5
	s_or_b64 s[2:3], s[0:1], s[2:3]
	v_addc_co_u32_e32 v6, vcc, 0, v6, vcc
	s_andn2_b64 exec, exec, s[2:3]
	s_cbranch_execnz .LBB30_28
.LBB30_29:
	s_endpgm
	.section	.rodata,"a",@progbits
	.p2align	6, 0x0
	.amdhsa_kernel _ZN9rocsparseL14csr2coo_kernelILj256ELj128EllEEvT2_PKT1_S4_PS1_21rocsparse_index_base_
		.amdhsa_group_segment_fixed_size 12
		.amdhsa_private_segment_fixed_size 0
		.amdhsa_kernarg_size 36
		.amdhsa_user_sgpr_count 6
		.amdhsa_user_sgpr_private_segment_buffer 1
		.amdhsa_user_sgpr_dispatch_ptr 0
		.amdhsa_user_sgpr_queue_ptr 0
		.amdhsa_user_sgpr_kernarg_segment_ptr 1
		.amdhsa_user_sgpr_dispatch_id 0
		.amdhsa_user_sgpr_flat_scratch_init 0
		.amdhsa_user_sgpr_private_segment_size 0
		.amdhsa_uses_dynamic_stack 0
		.amdhsa_system_sgpr_private_segment_wavefront_offset 0
		.amdhsa_system_sgpr_workgroup_id_x 1
		.amdhsa_system_sgpr_workgroup_id_y 0
		.amdhsa_system_sgpr_workgroup_id_z 0
		.amdhsa_system_sgpr_workgroup_info 0
		.amdhsa_system_vgpr_workitem_id 0
		.amdhsa_next_free_vgpr 10
		.amdhsa_next_free_sgpr 21
		.amdhsa_reserve_vcc 1
		.amdhsa_reserve_flat_scratch 0
		.amdhsa_float_round_mode_32 0
		.amdhsa_float_round_mode_16_64 0
		.amdhsa_float_denorm_mode_32 3
		.amdhsa_float_denorm_mode_16_64 3
		.amdhsa_dx10_clamp 1
		.amdhsa_ieee_mode 1
		.amdhsa_fp16_overflow 0
		.amdhsa_exception_fp_ieee_invalid_op 0
		.amdhsa_exception_fp_denorm_src 0
		.amdhsa_exception_fp_ieee_div_zero 0
		.amdhsa_exception_fp_ieee_overflow 0
		.amdhsa_exception_fp_ieee_underflow 0
		.amdhsa_exception_fp_ieee_inexact 0
		.amdhsa_exception_int_div_zero 0
	.end_amdhsa_kernel
	.section	.text._ZN9rocsparseL14csr2coo_kernelILj256ELj128EllEEvT2_PKT1_S4_PS1_21rocsparse_index_base_,"axG",@progbits,_ZN9rocsparseL14csr2coo_kernelILj256ELj128EllEEvT2_PKT1_S4_PS1_21rocsparse_index_base_,comdat
.Lfunc_end30:
	.size	_ZN9rocsparseL14csr2coo_kernelILj256ELj128EllEEvT2_PKT1_S4_PS1_21rocsparse_index_base_, .Lfunc_end30-_ZN9rocsparseL14csr2coo_kernelILj256ELj128EllEEvT2_PKT1_S4_PS1_21rocsparse_index_base_
                                        ; -- End function
	.set _ZN9rocsparseL14csr2coo_kernelILj256ELj128EllEEvT2_PKT1_S4_PS1_21rocsparse_index_base_.num_vgpr, 10
	.set _ZN9rocsparseL14csr2coo_kernelILj256ELj128EllEEvT2_PKT1_S4_PS1_21rocsparse_index_base_.num_agpr, 0
	.set _ZN9rocsparseL14csr2coo_kernelILj256ELj128EllEEvT2_PKT1_S4_PS1_21rocsparse_index_base_.numbered_sgpr, 21
	.set _ZN9rocsparseL14csr2coo_kernelILj256ELj128EllEEvT2_PKT1_S4_PS1_21rocsparse_index_base_.num_named_barrier, 0
	.set _ZN9rocsparseL14csr2coo_kernelILj256ELj128EllEEvT2_PKT1_S4_PS1_21rocsparse_index_base_.private_seg_size, 0
	.set _ZN9rocsparseL14csr2coo_kernelILj256ELj128EllEEvT2_PKT1_S4_PS1_21rocsparse_index_base_.uses_vcc, 1
	.set _ZN9rocsparseL14csr2coo_kernelILj256ELj128EllEEvT2_PKT1_S4_PS1_21rocsparse_index_base_.uses_flat_scratch, 0
	.set _ZN9rocsparseL14csr2coo_kernelILj256ELj128EllEEvT2_PKT1_S4_PS1_21rocsparse_index_base_.has_dyn_sized_stack, 0
	.set _ZN9rocsparseL14csr2coo_kernelILj256ELj128EllEEvT2_PKT1_S4_PS1_21rocsparse_index_base_.has_recursion, 0
	.set _ZN9rocsparseL14csr2coo_kernelILj256ELj128EllEEvT2_PKT1_S4_PS1_21rocsparse_index_base_.has_indirect_call, 0
	.section	.AMDGPU.csdata,"",@progbits
; Kernel info:
; codeLenInByte = 956
; TotalNumSgprs: 25
; NumVgprs: 10
; ScratchSize: 0
; MemoryBound: 0
; FloatMode: 240
; IeeeMode: 1
; LDSByteSize: 12 bytes/workgroup (compile time only)
; SGPRBlocks: 3
; VGPRBlocks: 2
; NumSGPRsForWavesPerEU: 25
; NumVGPRsForWavesPerEU: 10
; Occupancy: 10
; WaveLimiterHint : 0
; COMPUTE_PGM_RSRC2:SCRATCH_EN: 0
; COMPUTE_PGM_RSRC2:USER_SGPR: 6
; COMPUTE_PGM_RSRC2:TRAP_HANDLER: 0
; COMPUTE_PGM_RSRC2:TGID_X_EN: 1
; COMPUTE_PGM_RSRC2:TGID_Y_EN: 0
; COMPUTE_PGM_RSRC2:TGID_Z_EN: 0
; COMPUTE_PGM_RSRC2:TIDIG_COMP_CNT: 0
	.section	.text._ZN9rocsparseL14csr2coo_kernelILj256ELj256EllEEvT2_PKT1_S4_PS1_21rocsparse_index_base_,"axG",@progbits,_ZN9rocsparseL14csr2coo_kernelILj256ELj256EllEEvT2_PKT1_S4_PS1_21rocsparse_index_base_,comdat
	.globl	_ZN9rocsparseL14csr2coo_kernelILj256ELj256EllEEvT2_PKT1_S4_PS1_21rocsparse_index_base_ ; -- Begin function _ZN9rocsparseL14csr2coo_kernelILj256ELj256EllEEvT2_PKT1_S4_PS1_21rocsparse_index_base_
	.p2align	8
	.type	_ZN9rocsparseL14csr2coo_kernelILj256ELj256EllEEvT2_PKT1_S4_PS1_21rocsparse_index_base_,@function
_ZN9rocsparseL14csr2coo_kernelILj256ELj256EllEEvT2_PKT1_S4_PS1_21rocsparse_index_base_: ; @_ZN9rocsparseL14csr2coo_kernelILj256ELj256EllEEvT2_PKT1_S4_PS1_21rocsparse_index_base_
; %bb.0:
	s_load_dwordx8 s[8:15], s[4:5], 0x0
	s_load_dword s20, s[4:5], 0x20
	v_mov_b32_e32 v1, 0
	v_mov_b32_e32 v2, 1
	ds_write_b32 v1, v2 offset:4
	s_waitcnt lgkmcnt(0)
	v_mov_b32_e32 v1, s8
	s_mov_b32 s7, 0
	v_mov_b32_e32 v2, s9
	v_cmp_lt_i64_e32 vcc, s[6:7], v[1:2]
	v_mov_b32_e32 v1, 0
	v_lshlrev_b64 v[7:8], 3, s[6:7]
	v_mov_b32_e32 v5, 0
	v_mov_b32_e32 v3, s6
	;; [unrolled: 1-line block ×5, first 2 shown]
	s_barrier
	s_and_saveexec_b64 s[2:3], vcc
	s_cbranch_execz .LBB31_2
; %bb.1:
	v_mov_b32_e32 v6, s11
	v_add_co_u32_e64 v5, s[0:1], s10, v7
	v_addc_co_u32_e64 v6, s[0:1], v6, v8, s[0:1]
	global_load_dwordx2 v[5:6], v[5:6], off
	s_waitcnt vmcnt(0)
	v_subrev_co_u32_e64 v5, s[0:1], s20, v5
	v_subbrev_co_u32_e64 v6, s[0:1], 0, v6, s[0:1]
.LBB31_2:
	s_or_b64 exec, exec, s[2:3]
	s_and_saveexec_b64 s[0:1], vcc
	s_cbranch_execz .LBB31_4
; %bb.3:
	v_mov_b32_e32 v2, s13
	v_add_co_u32_e32 v1, vcc, s12, v7
	v_addc_co_u32_e32 v2, vcc, v2, v8, vcc
	global_load_dwordx2 v[1:2], v[1:2], off
	s_waitcnt vmcnt(0)
	v_subrev_co_u32_e32 v1, vcc, s20, v1
	v_subbrev_co_u32_e32 v2, vcc, 0, v2, vcc
.LBB31_4:
	s_or_b64 exec, exec, s[0:1]
	v_sub_co_u32_e32 v7, vcc, v1, v5
	v_subb_co_u32_e32 v8, vcc, v2, v6, vcc
	s_mov_b64 s[0:1], 0x801
	s_mov_b64 s[2:3], 0x800
	v_cmp_gt_i64_e64 s[0:1], s[0:1], v[7:8]
	v_cmp_lt_i64_e32 vcc, s[2:3], v[7:8]
	s_and_saveexec_b64 s[2:3], vcc
	s_xor_b64 s[2:3], exec, s[2:3]
; %bb.5:
	v_mov_b32_e32 v1, 0
	ds_write_b32 v1, v1 offset:4
                                        ; implicit-def: $vgpr5_vgpr6
                                        ; implicit-def: $vgpr1_vgpr2
                                        ; implicit-def: $vgpr3_vgpr4
; %bb.6:
	s_andn2_saveexec_b64 s[4:5], s[2:3]
	s_cbranch_execz .LBB31_11
; %bb.7:
	v_add_co_u32_e32 v5, vcc, v5, v0
	v_addc_co_u32_e32 v6, vcc, 0, v6, vcc
	v_cmp_lt_i64_e32 vcc, v[5:6], v[1:2]
	s_and_saveexec_b64 s[16:17], vcc
	s_cbranch_execz .LBB31_10
; %bb.8:
	v_add_co_u32_e32 v3, vcc, s20, v3
	v_lshlrev_b64 v[7:8], 3, v[5:6]
	v_addc_co_u32_e32 v4, vcc, 0, v4, vcc
	v_mov_b32_e32 v9, s15
	v_add_co_u32_e32 v7, vcc, s14, v7
	v_addc_co_u32_e32 v8, vcc, v9, v8, vcc
	s_mov_b64 s[18:19], 0
.LBB31_9:                               ; =>This Inner Loop Header: Depth=1
	v_add_co_u32_e32 v5, vcc, 0x100, v5
	v_addc_co_u32_e32 v6, vcc, 0, v6, vcc
	v_cmp_ge_i64_e64 s[2:3], v[5:6], v[1:2]
	global_store_dwordx2 v[7:8], v[3:4], off
	v_add_co_u32_e32 v7, vcc, 0x800, v7
	s_or_b64 s[18:19], s[2:3], s[18:19]
	v_addc_co_u32_e32 v8, vcc, 0, v8, vcc
	s_andn2_b64 exec, exec, s[18:19]
	s_cbranch_execnz .LBB31_9
.LBB31_10:
	s_or_b64 exec, exec, s[16:17]
.LBB31_11:
	s_or_b64 exec, exec, s[4:5]
	v_cndmask_b32_e64 v2, 0, 1, s[0:1]
	v_mov_b32_e32 v1, 0
	ds_write_b32 v1, v2
	s_waitcnt vmcnt(0) lgkmcnt(0)
	s_barrier
	ds_read_b32 v2, v1 offset:4
	s_waitcnt lgkmcnt(0)
	v_cmp_ne_u32_e32 vcc, 0, v2
	s_cbranch_vccnz .LBB31_20
; %bb.12:
	ds_read_b32 v1, v1
	s_waitcnt lgkmcnt(0)
	v_cmp_ne_u32_e32 vcc, 0, v1
	s_cbranch_vccnz .LBB31_20
; %bb.13:
	v_mov_b32_e32 v1, s6
	v_mov_b32_e32 v2, s7
	v_cmp_le_i64_e32 vcc, s[8:9], v[1:2]
	v_cmp_gt_i64_e64 s[0:1], s[8:9], v[1:2]
	v_mov_b32_e32 v1, 0
	v_mov_b32_e32 v3, 0
	;; [unrolled: 1-line block ×4, first 2 shown]
	s_cbranch_vccnz .LBB31_15
; %bb.14:
	s_lshl_b64 s[2:3], s[6:7], 3
	s_add_u32 s2, s10, s2
	s_addc_u32 s3, s11, s3
	v_mov_b32_e32 v3, 0
	global_load_dwordx2 v[3:4], v3, s[2:3]
	s_waitcnt vmcnt(0)
	v_subrev_co_u32_e32 v3, vcc, s20, v3
	v_subbrev_co_u32_e32 v4, vcc, 0, v4, vcc
.LBB31_15:
	s_andn2_b64 vcc, exec, s[0:1]
	s_cbranch_vccnz .LBB31_17
; %bb.16:
	s_lshl_b64 s[0:1], s[6:7], 3
	s_add_u32 s0, s12, s0
	s_addc_u32 s1, s13, s1
	v_mov_b32_e32 v1, 0
	global_load_dwordx2 v[1:2], v1, s[0:1]
	s_waitcnt vmcnt(0)
	v_subrev_co_u32_e32 v1, vcc, s20, v1
	v_subbrev_co_u32_e32 v2, vcc, 0, v2, vcc
.LBB31_17:
	v_add_co_u32_e32 v3, vcc, v3, v0
	v_addc_co_u32_e32 v4, vcc, 0, v4, vcc
	v_cmp_lt_i64_e32 vcc, v[3:4], v[1:2]
	s_and_saveexec_b64 s[0:1], vcc
	s_cbranch_execz .LBB31_20
; %bb.18:
	s_add_u32 s0, s20, s6
	v_lshlrev_b64 v[5:6], 3, v[3:4]
	s_addc_u32 s1, 0, 0
	v_mov_b32_e32 v0, s15
	v_add_co_u32_e32 v5, vcc, s14, v5
	v_mov_b32_e32 v8, s1
	v_addc_co_u32_e32 v6, vcc, v0, v6, vcc
	s_mov_b64 s[2:3], 0
	v_mov_b32_e32 v7, s0
.LBB31_19:                              ; =>This Inner Loop Header: Depth=1
	v_add_co_u32_e32 v3, vcc, 0x100, v3
	v_addc_co_u32_e32 v4, vcc, 0, v4, vcc
	v_cmp_ge_i64_e64 s[0:1], v[3:4], v[1:2]
	global_store_dwordx2 v[5:6], v[7:8], off
	v_add_co_u32_e32 v5, vcc, 0x800, v5
	s_or_b64 s[2:3], s[0:1], s[2:3]
	v_addc_co_u32_e32 v6, vcc, 0, v6, vcc
	s_andn2_b64 exec, exec, s[2:3]
	s_cbranch_execnz .LBB31_19
.LBB31_20:
	s_endpgm
	.section	.rodata,"a",@progbits
	.p2align	6, 0x0
	.amdhsa_kernel _ZN9rocsparseL14csr2coo_kernelILj256ELj256EllEEvT2_PKT1_S4_PS1_21rocsparse_index_base_
		.amdhsa_group_segment_fixed_size 8
		.amdhsa_private_segment_fixed_size 0
		.amdhsa_kernarg_size 36
		.amdhsa_user_sgpr_count 6
		.amdhsa_user_sgpr_private_segment_buffer 1
		.amdhsa_user_sgpr_dispatch_ptr 0
		.amdhsa_user_sgpr_queue_ptr 0
		.amdhsa_user_sgpr_kernarg_segment_ptr 1
		.amdhsa_user_sgpr_dispatch_id 0
		.amdhsa_user_sgpr_flat_scratch_init 0
		.amdhsa_user_sgpr_private_segment_size 0
		.amdhsa_uses_dynamic_stack 0
		.amdhsa_system_sgpr_private_segment_wavefront_offset 0
		.amdhsa_system_sgpr_workgroup_id_x 1
		.amdhsa_system_sgpr_workgroup_id_y 0
		.amdhsa_system_sgpr_workgroup_id_z 0
		.amdhsa_system_sgpr_workgroup_info 0
		.amdhsa_system_vgpr_workitem_id 0
		.amdhsa_next_free_vgpr 10
		.amdhsa_next_free_sgpr 21
		.amdhsa_reserve_vcc 1
		.amdhsa_reserve_flat_scratch 0
		.amdhsa_float_round_mode_32 0
		.amdhsa_float_round_mode_16_64 0
		.amdhsa_float_denorm_mode_32 3
		.amdhsa_float_denorm_mode_16_64 3
		.amdhsa_dx10_clamp 1
		.amdhsa_ieee_mode 1
		.amdhsa_fp16_overflow 0
		.amdhsa_exception_fp_ieee_invalid_op 0
		.amdhsa_exception_fp_denorm_src 0
		.amdhsa_exception_fp_ieee_div_zero 0
		.amdhsa_exception_fp_ieee_overflow 0
		.amdhsa_exception_fp_ieee_underflow 0
		.amdhsa_exception_fp_ieee_inexact 0
		.amdhsa_exception_int_div_zero 0
	.end_amdhsa_kernel
	.section	.text._ZN9rocsparseL14csr2coo_kernelILj256ELj256EllEEvT2_PKT1_S4_PS1_21rocsparse_index_base_,"axG",@progbits,_ZN9rocsparseL14csr2coo_kernelILj256ELj256EllEEvT2_PKT1_S4_PS1_21rocsparse_index_base_,comdat
.Lfunc_end31:
	.size	_ZN9rocsparseL14csr2coo_kernelILj256ELj256EllEEvT2_PKT1_S4_PS1_21rocsparse_index_base_, .Lfunc_end31-_ZN9rocsparseL14csr2coo_kernelILj256ELj256EllEEvT2_PKT1_S4_PS1_21rocsparse_index_base_
                                        ; -- End function
	.set _ZN9rocsparseL14csr2coo_kernelILj256ELj256EllEEvT2_PKT1_S4_PS1_21rocsparse_index_base_.num_vgpr, 10
	.set _ZN9rocsparseL14csr2coo_kernelILj256ELj256EllEEvT2_PKT1_S4_PS1_21rocsparse_index_base_.num_agpr, 0
	.set _ZN9rocsparseL14csr2coo_kernelILj256ELj256EllEEvT2_PKT1_S4_PS1_21rocsparse_index_base_.numbered_sgpr, 21
	.set _ZN9rocsparseL14csr2coo_kernelILj256ELj256EllEEvT2_PKT1_S4_PS1_21rocsparse_index_base_.num_named_barrier, 0
	.set _ZN9rocsparseL14csr2coo_kernelILj256ELj256EllEEvT2_PKT1_S4_PS1_21rocsparse_index_base_.private_seg_size, 0
	.set _ZN9rocsparseL14csr2coo_kernelILj256ELj256EllEEvT2_PKT1_S4_PS1_21rocsparse_index_base_.uses_vcc, 1
	.set _ZN9rocsparseL14csr2coo_kernelILj256ELj256EllEEvT2_PKT1_S4_PS1_21rocsparse_index_base_.uses_flat_scratch, 0
	.set _ZN9rocsparseL14csr2coo_kernelILj256ELj256EllEEvT2_PKT1_S4_PS1_21rocsparse_index_base_.has_dyn_sized_stack, 0
	.set _ZN9rocsparseL14csr2coo_kernelILj256ELj256EllEEvT2_PKT1_S4_PS1_21rocsparse_index_base_.has_recursion, 0
	.set _ZN9rocsparseL14csr2coo_kernelILj256ELj256EllEEvT2_PKT1_S4_PS1_21rocsparse_index_base_.has_indirect_call, 0
	.section	.AMDGPU.csdata,"",@progbits
; Kernel info:
; codeLenInByte = 672
; TotalNumSgprs: 25
; NumVgprs: 10
; ScratchSize: 0
; MemoryBound: 0
; FloatMode: 240
; IeeeMode: 1
; LDSByteSize: 8 bytes/workgroup (compile time only)
; SGPRBlocks: 3
; VGPRBlocks: 2
; NumSGPRsForWavesPerEU: 25
; NumVGPRsForWavesPerEU: 10
; Occupancy: 10
; WaveLimiterHint : 0
; COMPUTE_PGM_RSRC2:SCRATCH_EN: 0
; COMPUTE_PGM_RSRC2:USER_SGPR: 6
; COMPUTE_PGM_RSRC2:TRAP_HANDLER: 0
; COMPUTE_PGM_RSRC2:TGID_X_EN: 1
; COMPUTE_PGM_RSRC2:TGID_Y_EN: 0
; COMPUTE_PGM_RSRC2:TGID_Z_EN: 0
; COMPUTE_PGM_RSRC2:TIDIG_COMP_CNT: 0
	.section	.AMDGPU.gpr_maximums,"",@progbits
	.set amdgpu.max_num_vgpr, 0
	.set amdgpu.max_num_agpr, 0
	.set amdgpu.max_num_sgpr, 0
	.section	.AMDGPU.csdata,"",@progbits
	.type	__hip_cuid_311083419b16fadf,@object ; @__hip_cuid_311083419b16fadf
	.section	.bss,"aw",@nobits
	.globl	__hip_cuid_311083419b16fadf
__hip_cuid_311083419b16fadf:
	.byte	0                               ; 0x0
	.size	__hip_cuid_311083419b16fadf, 1

	.ident	"AMD clang version 22.0.0git (https://github.com/RadeonOpenCompute/llvm-project roc-7.2.4 26084 f58b06dce1f9c15707c5f808fd002e18c2accf7e)"
	.section	".note.GNU-stack","",@progbits
	.addrsig
	.addrsig_sym __hip_cuid_311083419b16fadf
	.amdgpu_metadata
---
amdhsa.kernels:
  - .args:
      - .offset:         0
        .size:           4
        .value_kind:     by_value
      - .address_space:  global
        .offset:         8
        .size:           8
        .value_kind:     global_buffer
      - .address_space:  global
        .offset:         16
        .size:           8
        .value_kind:     global_buffer
      - .address_space:  global
        .offset:         24
        .size:           8
        .value_kind:     global_buffer
      - .offset:         32
        .size:           4
        .value_kind:     by_value
    .group_segment_fixed_size: 516
    .kernarg_segment_align: 8
    .kernarg_segment_size: 36
    .language:       OpenCL C
    .language_version:
      - 2
      - 0
    .max_flat_workgroup_size: 256
    .name:           _ZN9rocsparseL14csr2coo_kernelILj256ELj2EiiEEvT2_PKT1_S4_PS1_21rocsparse_index_base_
    .private_segment_fixed_size: 0
    .sgpr_count:     24
    .sgpr_spill_count: 0
    .symbol:         _ZN9rocsparseL14csr2coo_kernelILj256ELj2EiiEEvT2_PKT1_S4_PS1_21rocsparse_index_base_.kd
    .uniform_work_group_size: 1
    .uses_dynamic_stack: false
    .vgpr_count:     9
    .vgpr_spill_count: 0
    .wavefront_size: 64
  - .args:
      - .offset:         0
        .size:           4
        .value_kind:     by_value
      - .address_space:  global
        .offset:         8
        .size:           8
        .value_kind:     global_buffer
      - .address_space:  global
        .offset:         16
        .size:           8
        .value_kind:     global_buffer
      - .address_space:  global
        .offset:         24
        .size:           8
        .value_kind:     global_buffer
      - .offset:         32
        .size:           4
        .value_kind:     by_value
    .group_segment_fixed_size: 260
    .kernarg_segment_align: 8
    .kernarg_segment_size: 36
    .language:       OpenCL C
    .language_version:
      - 2
      - 0
    .max_flat_workgroup_size: 256
    .name:           _ZN9rocsparseL14csr2coo_kernelILj256ELj4EiiEEvT2_PKT1_S4_PS1_21rocsparse_index_base_
    .private_segment_fixed_size: 0
    .sgpr_count:     24
    .sgpr_spill_count: 0
    .symbol:         _ZN9rocsparseL14csr2coo_kernelILj256ELj4EiiEEvT2_PKT1_S4_PS1_21rocsparse_index_base_.kd
    .uniform_work_group_size: 1
    .uses_dynamic_stack: false
    .vgpr_count:     9
    .vgpr_spill_count: 0
    .wavefront_size: 64
  - .args:
      - .offset:         0
        .size:           4
        .value_kind:     by_value
      - .address_space:  global
        .offset:         8
        .size:           8
        .value_kind:     global_buffer
      - .address_space:  global
        .offset:         16
        .size:           8
        .value_kind:     global_buffer
      - .address_space:  global
        .offset:         24
        .size:           8
        .value_kind:     global_buffer
      - .offset:         32
        .size:           4
        .value_kind:     by_value
    .group_segment_fixed_size: 132
    .kernarg_segment_align: 8
    .kernarg_segment_size: 36
    .language:       OpenCL C
    .language_version:
      - 2
      - 0
    .max_flat_workgroup_size: 256
    .name:           _ZN9rocsparseL14csr2coo_kernelILj256ELj8EiiEEvT2_PKT1_S4_PS1_21rocsparse_index_base_
    .private_segment_fixed_size: 0
    .sgpr_count:     24
    .sgpr_spill_count: 0
    .symbol:         _ZN9rocsparseL14csr2coo_kernelILj256ELj8EiiEEvT2_PKT1_S4_PS1_21rocsparse_index_base_.kd
    .uniform_work_group_size: 1
    .uses_dynamic_stack: false
    .vgpr_count:     9
    .vgpr_spill_count: 0
    .wavefront_size: 64
  - .args:
      - .offset:         0
        .size:           4
        .value_kind:     by_value
      - .address_space:  global
        .offset:         8
        .size:           8
        .value_kind:     global_buffer
      - .address_space:  global
        .offset:         16
        .size:           8
        .value_kind:     global_buffer
      - .address_space:  global
        .offset:         24
        .size:           8
        .value_kind:     global_buffer
      - .offset:         32
        .size:           4
        .value_kind:     by_value
    .group_segment_fixed_size: 68
    .kernarg_segment_align: 8
    .kernarg_segment_size: 36
    .language:       OpenCL C
    .language_version:
      - 2
      - 0
    .max_flat_workgroup_size: 256
    .name:           _ZN9rocsparseL14csr2coo_kernelILj256ELj16EiiEEvT2_PKT1_S4_PS1_21rocsparse_index_base_
    .private_segment_fixed_size: 0
    .sgpr_count:     22
    .sgpr_spill_count: 0
    .symbol:         _ZN9rocsparseL14csr2coo_kernelILj256ELj16EiiEEvT2_PKT1_S4_PS1_21rocsparse_index_base_.kd
    .uniform_work_group_size: 1
    .uses_dynamic_stack: false
    .vgpr_count:     9
    .vgpr_spill_count: 0
    .wavefront_size: 64
  - .args:
      - .offset:         0
        .size:           4
        .value_kind:     by_value
      - .address_space:  global
        .offset:         8
        .size:           8
        .value_kind:     global_buffer
      - .address_space:  global
        .offset:         16
        .size:           8
        .value_kind:     global_buffer
      - .address_space:  global
        .offset:         24
        .size:           8
        .value_kind:     global_buffer
      - .offset:         32
        .size:           4
        .value_kind:     by_value
    .group_segment_fixed_size: 36
    .kernarg_segment_align: 8
    .kernarg_segment_size: 36
    .language:       OpenCL C
    .language_version:
      - 2
      - 0
    .max_flat_workgroup_size: 256
    .name:           _ZN9rocsparseL14csr2coo_kernelILj256ELj32EiiEEvT2_PKT1_S4_PS1_21rocsparse_index_base_
    .private_segment_fixed_size: 0
    .sgpr_count:     22
    .sgpr_spill_count: 0
    .symbol:         _ZN9rocsparseL14csr2coo_kernelILj256ELj32EiiEEvT2_PKT1_S4_PS1_21rocsparse_index_base_.kd
    .uniform_work_group_size: 1
    .uses_dynamic_stack: false
    .vgpr_count:     9
    .vgpr_spill_count: 0
    .wavefront_size: 64
  - .args:
      - .offset:         0
        .size:           4
        .value_kind:     by_value
      - .address_space:  global
        .offset:         8
        .size:           8
        .value_kind:     global_buffer
      - .address_space:  global
        .offset:         16
        .size:           8
        .value_kind:     global_buffer
      - .address_space:  global
        .offset:         24
        .size:           8
        .value_kind:     global_buffer
      - .offset:         32
        .size:           4
        .value_kind:     by_value
    .group_segment_fixed_size: 20
    .kernarg_segment_align: 8
    .kernarg_segment_size: 36
    .language:       OpenCL C
    .language_version:
      - 2
      - 0
    .max_flat_workgroup_size: 256
    .name:           _ZN9rocsparseL14csr2coo_kernelILj256ELj64EiiEEvT2_PKT1_S4_PS1_21rocsparse_index_base_
    .private_segment_fixed_size: 0
    .sgpr_count:     22
    .sgpr_spill_count: 0
    .symbol:         _ZN9rocsparseL14csr2coo_kernelILj256ELj64EiiEEvT2_PKT1_S4_PS1_21rocsparse_index_base_.kd
    .uniform_work_group_size: 1
    .uses_dynamic_stack: false
    .vgpr_count:     9
    .vgpr_spill_count: 0
    .wavefront_size: 64
  - .args:
      - .offset:         0
        .size:           4
        .value_kind:     by_value
      - .address_space:  global
        .offset:         8
        .size:           8
        .value_kind:     global_buffer
      - .address_space:  global
        .offset:         16
        .size:           8
        .value_kind:     global_buffer
      - .address_space:  global
        .offset:         24
        .size:           8
        .value_kind:     global_buffer
      - .offset:         32
        .size:           4
        .value_kind:     by_value
    .group_segment_fixed_size: 12
    .kernarg_segment_align: 8
    .kernarg_segment_size: 36
    .language:       OpenCL C
    .language_version:
      - 2
      - 0
    .max_flat_workgroup_size: 256
    .name:           _ZN9rocsparseL14csr2coo_kernelILj256ELj128EiiEEvT2_PKT1_S4_PS1_21rocsparse_index_base_
    .private_segment_fixed_size: 0
    .sgpr_count:     22
    .sgpr_spill_count: 0
    .symbol:         _ZN9rocsparseL14csr2coo_kernelILj256ELj128EiiEEvT2_PKT1_S4_PS1_21rocsparse_index_base_.kd
    .uniform_work_group_size: 1
    .uses_dynamic_stack: false
    .vgpr_count:     9
    .vgpr_spill_count: 0
    .wavefront_size: 64
  - .args:
      - .offset:         0
        .size:           4
        .value_kind:     by_value
      - .address_space:  global
        .offset:         8
        .size:           8
        .value_kind:     global_buffer
      - .address_space:  global
        .offset:         16
        .size:           8
        .value_kind:     global_buffer
      - .address_space:  global
        .offset:         24
        .size:           8
        .value_kind:     global_buffer
      - .offset:         32
        .size:           4
        .value_kind:     by_value
    .group_segment_fixed_size: 8
    .kernarg_segment_align: 8
    .kernarg_segment_size: 36
    .language:       OpenCL C
    .language_version:
      - 2
      - 0
    .max_flat_workgroup_size: 256
    .name:           _ZN9rocsparseL14csr2coo_kernelILj256ELj256EiiEEvT2_PKT1_S4_PS1_21rocsparse_index_base_
    .private_segment_fixed_size: 0
    .sgpr_count:     22
    .sgpr_spill_count: 0
    .symbol:         _ZN9rocsparseL14csr2coo_kernelILj256ELj256EiiEEvT2_PKT1_S4_PS1_21rocsparse_index_base_.kd
    .uniform_work_group_size: 1
    .uses_dynamic_stack: false
    .vgpr_count:     8
    .vgpr_spill_count: 0
    .wavefront_size: 64
  - .args:
      - .offset:         0
        .size:           4
        .value_kind:     by_value
      - .address_space:  global
        .offset:         8
        .size:           8
        .value_kind:     global_buffer
      - .address_space:  global
        .offset:         16
        .size:           8
        .value_kind:     global_buffer
      - .address_space:  global
        .offset:         24
        .size:           8
        .value_kind:     global_buffer
      - .offset:         32
        .size:           4
        .value_kind:     by_value
    .group_segment_fixed_size: 516
    .kernarg_segment_align: 8
    .kernarg_segment_size: 36
    .language:       OpenCL C
    .language_version:
      - 2
      - 0
    .max_flat_workgroup_size: 256
    .name:           _ZN9rocsparseL14csr2coo_kernelILj256ELj2EliEEvT2_PKT1_S4_PS1_21rocsparse_index_base_
    .private_segment_fixed_size: 0
    .sgpr_count:     25
    .sgpr_spill_count: 0
    .symbol:         _ZN9rocsparseL14csr2coo_kernelILj256ELj2EliEEvT2_PKT1_S4_PS1_21rocsparse_index_base_.kd
    .uniform_work_group_size: 1
    .uses_dynamic_stack: false
    .vgpr_count:     11
    .vgpr_spill_count: 0
    .wavefront_size: 64
  - .args:
      - .offset:         0
        .size:           4
        .value_kind:     by_value
      - .address_space:  global
        .offset:         8
        .size:           8
        .value_kind:     global_buffer
      - .address_space:  global
        .offset:         16
        .size:           8
        .value_kind:     global_buffer
      - .address_space:  global
        .offset:         24
        .size:           8
        .value_kind:     global_buffer
      - .offset:         32
        .size:           4
        .value_kind:     by_value
    .group_segment_fixed_size: 260
    .kernarg_segment_align: 8
    .kernarg_segment_size: 36
    .language:       OpenCL C
    .language_version:
      - 2
      - 0
    .max_flat_workgroup_size: 256
    .name:           _ZN9rocsparseL14csr2coo_kernelILj256ELj4EliEEvT2_PKT1_S4_PS1_21rocsparse_index_base_
    .private_segment_fixed_size: 0
    .sgpr_count:     25
    .sgpr_spill_count: 0
    .symbol:         _ZN9rocsparseL14csr2coo_kernelILj256ELj4EliEEvT2_PKT1_S4_PS1_21rocsparse_index_base_.kd
    .uniform_work_group_size: 1
    .uses_dynamic_stack: false
    .vgpr_count:     11
    .vgpr_spill_count: 0
    .wavefront_size: 64
  - .args:
      - .offset:         0
        .size:           4
        .value_kind:     by_value
      - .address_space:  global
        .offset:         8
        .size:           8
        .value_kind:     global_buffer
      - .address_space:  global
        .offset:         16
        .size:           8
        .value_kind:     global_buffer
      - .address_space:  global
        .offset:         24
        .size:           8
        .value_kind:     global_buffer
      - .offset:         32
        .size:           4
        .value_kind:     by_value
    .group_segment_fixed_size: 132
    .kernarg_segment_align: 8
    .kernarg_segment_size: 36
    .language:       OpenCL C
    .language_version:
      - 2
      - 0
    .max_flat_workgroup_size: 256
    .name:           _ZN9rocsparseL14csr2coo_kernelILj256ELj8EliEEvT2_PKT1_S4_PS1_21rocsparse_index_base_
    .private_segment_fixed_size: 0
    .sgpr_count:     25
    .sgpr_spill_count: 0
    .symbol:         _ZN9rocsparseL14csr2coo_kernelILj256ELj8EliEEvT2_PKT1_S4_PS1_21rocsparse_index_base_.kd
    .uniform_work_group_size: 1
    .uses_dynamic_stack: false
    .vgpr_count:     11
    .vgpr_spill_count: 0
    .wavefront_size: 64
  - .args:
      - .offset:         0
        .size:           4
        .value_kind:     by_value
      - .address_space:  global
        .offset:         8
        .size:           8
        .value_kind:     global_buffer
      - .address_space:  global
        .offset:         16
        .size:           8
        .value_kind:     global_buffer
      - .address_space:  global
        .offset:         24
        .size:           8
        .value_kind:     global_buffer
      - .offset:         32
        .size:           4
        .value_kind:     by_value
    .group_segment_fixed_size: 68
    .kernarg_segment_align: 8
    .kernarg_segment_size: 36
    .language:       OpenCL C
    .language_version:
      - 2
      - 0
    .max_flat_workgroup_size: 256
    .name:           _ZN9rocsparseL14csr2coo_kernelILj256ELj16EliEEvT2_PKT1_S4_PS1_21rocsparse_index_base_
    .private_segment_fixed_size: 0
    .sgpr_count:     24
    .sgpr_spill_count: 0
    .symbol:         _ZN9rocsparseL14csr2coo_kernelILj256ELj16EliEEvT2_PKT1_S4_PS1_21rocsparse_index_base_.kd
    .uniform_work_group_size: 1
    .uses_dynamic_stack: false
    .vgpr_count:     11
    .vgpr_spill_count: 0
    .wavefront_size: 64
  - .args:
      - .offset:         0
        .size:           4
        .value_kind:     by_value
      - .address_space:  global
        .offset:         8
        .size:           8
        .value_kind:     global_buffer
      - .address_space:  global
        .offset:         16
        .size:           8
        .value_kind:     global_buffer
      - .address_space:  global
        .offset:         24
        .size:           8
        .value_kind:     global_buffer
      - .offset:         32
        .size:           4
        .value_kind:     by_value
    .group_segment_fixed_size: 36
    .kernarg_segment_align: 8
    .kernarg_segment_size: 36
    .language:       OpenCL C
    .language_version:
      - 2
      - 0
    .max_flat_workgroup_size: 256
    .name:           _ZN9rocsparseL14csr2coo_kernelILj256ELj32EliEEvT2_PKT1_S4_PS1_21rocsparse_index_base_
    .private_segment_fixed_size: 0
    .sgpr_count:     24
    .sgpr_spill_count: 0
    .symbol:         _ZN9rocsparseL14csr2coo_kernelILj256ELj32EliEEvT2_PKT1_S4_PS1_21rocsparse_index_base_.kd
    .uniform_work_group_size: 1
    .uses_dynamic_stack: false
    .vgpr_count:     11
    .vgpr_spill_count: 0
    .wavefront_size: 64
  - .args:
      - .offset:         0
        .size:           4
        .value_kind:     by_value
      - .address_space:  global
        .offset:         8
        .size:           8
        .value_kind:     global_buffer
      - .address_space:  global
        .offset:         16
        .size:           8
        .value_kind:     global_buffer
      - .address_space:  global
        .offset:         24
        .size:           8
        .value_kind:     global_buffer
      - .offset:         32
        .size:           4
        .value_kind:     by_value
    .group_segment_fixed_size: 20
    .kernarg_segment_align: 8
    .kernarg_segment_size: 36
    .language:       OpenCL C
    .language_version:
      - 2
      - 0
    .max_flat_workgroup_size: 256
    .name:           _ZN9rocsparseL14csr2coo_kernelILj256ELj64EliEEvT2_PKT1_S4_PS1_21rocsparse_index_base_
    .private_segment_fixed_size: 0
    .sgpr_count:     24
    .sgpr_spill_count: 0
    .symbol:         _ZN9rocsparseL14csr2coo_kernelILj256ELj64EliEEvT2_PKT1_S4_PS1_21rocsparse_index_base_.kd
    .uniform_work_group_size: 1
    .uses_dynamic_stack: false
    .vgpr_count:     11
    .vgpr_spill_count: 0
    .wavefront_size: 64
  - .args:
      - .offset:         0
        .size:           4
        .value_kind:     by_value
      - .address_space:  global
        .offset:         8
        .size:           8
        .value_kind:     global_buffer
      - .address_space:  global
        .offset:         16
        .size:           8
        .value_kind:     global_buffer
      - .address_space:  global
        .offset:         24
        .size:           8
        .value_kind:     global_buffer
      - .offset:         32
        .size:           4
        .value_kind:     by_value
    .group_segment_fixed_size: 12
    .kernarg_segment_align: 8
    .kernarg_segment_size: 36
    .language:       OpenCL C
    .language_version:
      - 2
      - 0
    .max_flat_workgroup_size: 256
    .name:           _ZN9rocsparseL14csr2coo_kernelILj256ELj128EliEEvT2_PKT1_S4_PS1_21rocsparse_index_base_
    .private_segment_fixed_size: 0
    .sgpr_count:     24
    .sgpr_spill_count: 0
    .symbol:         _ZN9rocsparseL14csr2coo_kernelILj256ELj128EliEEvT2_PKT1_S4_PS1_21rocsparse_index_base_.kd
    .uniform_work_group_size: 1
    .uses_dynamic_stack: false
    .vgpr_count:     11
    .vgpr_spill_count: 0
    .wavefront_size: 64
  - .args:
      - .offset:         0
        .size:           4
        .value_kind:     by_value
      - .address_space:  global
        .offset:         8
        .size:           8
        .value_kind:     global_buffer
      - .address_space:  global
        .offset:         16
        .size:           8
        .value_kind:     global_buffer
      - .address_space:  global
        .offset:         24
        .size:           8
        .value_kind:     global_buffer
      - .offset:         32
        .size:           4
        .value_kind:     by_value
    .group_segment_fixed_size: 8
    .kernarg_segment_align: 8
    .kernarg_segment_size: 36
    .language:       OpenCL C
    .language_version:
      - 2
      - 0
    .max_flat_workgroup_size: 256
    .name:           _ZN9rocsparseL14csr2coo_kernelILj256ELj256EliEEvT2_PKT1_S4_PS1_21rocsparse_index_base_
    .private_segment_fixed_size: 0
    .sgpr_count:     24
    .sgpr_spill_count: 0
    .symbol:         _ZN9rocsparseL14csr2coo_kernelILj256ELj256EliEEvT2_PKT1_S4_PS1_21rocsparse_index_base_.kd
    .uniform_work_group_size: 1
    .uses_dynamic_stack: false
    .vgpr_count:     9
    .vgpr_spill_count: 0
    .wavefront_size: 64
  - .args:
      - .offset:         0
        .size:           8
        .value_kind:     by_value
      - .address_space:  global
        .offset:         8
        .size:           8
        .value_kind:     global_buffer
      - .address_space:  global
        .offset:         16
        .size:           8
        .value_kind:     global_buffer
      - .address_space:  global
        .offset:         24
        .size:           8
        .value_kind:     global_buffer
      - .offset:         32
        .size:           4
        .value_kind:     by_value
    .group_segment_fixed_size: 516
    .kernarg_segment_align: 8
    .kernarg_segment_size: 36
    .language:       OpenCL C
    .language_version:
      - 2
      - 0
    .max_flat_workgroup_size: 256
    .name:           _ZN9rocsparseL14csr2coo_kernelILj256ELj2EilEEvT2_PKT1_S4_PS1_21rocsparse_index_base_
    .private_segment_fixed_size: 0
    .sgpr_count:     26
    .sgpr_spill_count: 0
    .symbol:         _ZN9rocsparseL14csr2coo_kernelILj256ELj2EilEEvT2_PKT1_S4_PS1_21rocsparse_index_base_.kd
    .uniform_work_group_size: 1
    .uses_dynamic_stack: false
    .vgpr_count:     10
    .vgpr_spill_count: 0
    .wavefront_size: 64
  - .args:
      - .offset:         0
        .size:           8
        .value_kind:     by_value
      - .address_space:  global
        .offset:         8
        .size:           8
        .value_kind:     global_buffer
      - .address_space:  global
        .offset:         16
        .size:           8
        .value_kind:     global_buffer
      - .address_space:  global
        .offset:         24
        .size:           8
        .value_kind:     global_buffer
      - .offset:         32
        .size:           4
        .value_kind:     by_value
    .group_segment_fixed_size: 260
    .kernarg_segment_align: 8
    .kernarg_segment_size: 36
    .language:       OpenCL C
    .language_version:
      - 2
      - 0
    .max_flat_workgroup_size: 256
    .name:           _ZN9rocsparseL14csr2coo_kernelILj256ELj4EilEEvT2_PKT1_S4_PS1_21rocsparse_index_base_
    .private_segment_fixed_size: 0
    .sgpr_count:     26
    .sgpr_spill_count: 0
    .symbol:         _ZN9rocsparseL14csr2coo_kernelILj256ELj4EilEEvT2_PKT1_S4_PS1_21rocsparse_index_base_.kd
    .uniform_work_group_size: 1
    .uses_dynamic_stack: false
    .vgpr_count:     10
    .vgpr_spill_count: 0
    .wavefront_size: 64
  - .args:
      - .offset:         0
        .size:           8
        .value_kind:     by_value
      - .address_space:  global
        .offset:         8
        .size:           8
        .value_kind:     global_buffer
      - .address_space:  global
        .offset:         16
        .size:           8
        .value_kind:     global_buffer
      - .address_space:  global
        .offset:         24
        .size:           8
        .value_kind:     global_buffer
      - .offset:         32
        .size:           4
        .value_kind:     by_value
    .group_segment_fixed_size: 132
    .kernarg_segment_align: 8
    .kernarg_segment_size: 36
    .language:       OpenCL C
    .language_version:
      - 2
      - 0
    .max_flat_workgroup_size: 256
    .name:           _ZN9rocsparseL14csr2coo_kernelILj256ELj8EilEEvT2_PKT1_S4_PS1_21rocsparse_index_base_
    .private_segment_fixed_size: 0
    .sgpr_count:     26
    .sgpr_spill_count: 0
    .symbol:         _ZN9rocsparseL14csr2coo_kernelILj256ELj8EilEEvT2_PKT1_S4_PS1_21rocsparse_index_base_.kd
    .uniform_work_group_size: 1
    .uses_dynamic_stack: false
    .vgpr_count:     10
    .vgpr_spill_count: 0
    .wavefront_size: 64
  - .args:
      - .offset:         0
        .size:           8
        .value_kind:     by_value
      - .address_space:  global
        .offset:         8
        .size:           8
        .value_kind:     global_buffer
      - .address_space:  global
        .offset:         16
        .size:           8
        .value_kind:     global_buffer
      - .address_space:  global
        .offset:         24
        .size:           8
        .value_kind:     global_buffer
      - .offset:         32
        .size:           4
        .value_kind:     by_value
    .group_segment_fixed_size: 68
    .kernarg_segment_align: 8
    .kernarg_segment_size: 36
    .language:       OpenCL C
    .language_version:
      - 2
      - 0
    .max_flat_workgroup_size: 256
    .name:           _ZN9rocsparseL14csr2coo_kernelILj256ELj16EilEEvT2_PKT1_S4_PS1_21rocsparse_index_base_
    .private_segment_fixed_size: 0
    .sgpr_count:     23
    .sgpr_spill_count: 0
    .symbol:         _ZN9rocsparseL14csr2coo_kernelILj256ELj16EilEEvT2_PKT1_S4_PS1_21rocsparse_index_base_.kd
    .uniform_work_group_size: 1
    .uses_dynamic_stack: false
    .vgpr_count:     10
    .vgpr_spill_count: 0
    .wavefront_size: 64
  - .args:
      - .offset:         0
        .size:           8
        .value_kind:     by_value
      - .address_space:  global
        .offset:         8
        .size:           8
        .value_kind:     global_buffer
      - .address_space:  global
        .offset:         16
        .size:           8
        .value_kind:     global_buffer
      - .address_space:  global
        .offset:         24
        .size:           8
        .value_kind:     global_buffer
      - .offset:         32
        .size:           4
        .value_kind:     by_value
    .group_segment_fixed_size: 36
    .kernarg_segment_align: 8
    .kernarg_segment_size: 36
    .language:       OpenCL C
    .language_version:
      - 2
      - 0
    .max_flat_workgroup_size: 256
    .name:           _ZN9rocsparseL14csr2coo_kernelILj256ELj32EilEEvT2_PKT1_S4_PS1_21rocsparse_index_base_
    .private_segment_fixed_size: 0
    .sgpr_count:     23
    .sgpr_spill_count: 0
    .symbol:         _ZN9rocsparseL14csr2coo_kernelILj256ELj32EilEEvT2_PKT1_S4_PS1_21rocsparse_index_base_.kd
    .uniform_work_group_size: 1
    .uses_dynamic_stack: false
    .vgpr_count:     10
    .vgpr_spill_count: 0
    .wavefront_size: 64
  - .args:
      - .offset:         0
        .size:           8
        .value_kind:     by_value
      - .address_space:  global
        .offset:         8
        .size:           8
        .value_kind:     global_buffer
      - .address_space:  global
        .offset:         16
        .size:           8
        .value_kind:     global_buffer
      - .address_space:  global
        .offset:         24
        .size:           8
        .value_kind:     global_buffer
      - .offset:         32
        .size:           4
        .value_kind:     by_value
    .group_segment_fixed_size: 20
    .kernarg_segment_align: 8
    .kernarg_segment_size: 36
    .language:       OpenCL C
    .language_version:
      - 2
      - 0
    .max_flat_workgroup_size: 256
    .name:           _ZN9rocsparseL14csr2coo_kernelILj256ELj64EilEEvT2_PKT1_S4_PS1_21rocsparse_index_base_
    .private_segment_fixed_size: 0
    .sgpr_count:     23
    .sgpr_spill_count: 0
    .symbol:         _ZN9rocsparseL14csr2coo_kernelILj256ELj64EilEEvT2_PKT1_S4_PS1_21rocsparse_index_base_.kd
    .uniform_work_group_size: 1
    .uses_dynamic_stack: false
    .vgpr_count:     10
    .vgpr_spill_count: 0
    .wavefront_size: 64
  - .args:
      - .offset:         0
        .size:           8
        .value_kind:     by_value
      - .address_space:  global
        .offset:         8
        .size:           8
        .value_kind:     global_buffer
      - .address_space:  global
        .offset:         16
        .size:           8
        .value_kind:     global_buffer
      - .address_space:  global
        .offset:         24
        .size:           8
        .value_kind:     global_buffer
      - .offset:         32
        .size:           4
        .value_kind:     by_value
    .group_segment_fixed_size: 12
    .kernarg_segment_align: 8
    .kernarg_segment_size: 36
    .language:       OpenCL C
    .language_version:
      - 2
      - 0
    .max_flat_workgroup_size: 256
    .name:           _ZN9rocsparseL14csr2coo_kernelILj256ELj128EilEEvT2_PKT1_S4_PS1_21rocsparse_index_base_
    .private_segment_fixed_size: 0
    .sgpr_count:     23
    .sgpr_spill_count: 0
    .symbol:         _ZN9rocsparseL14csr2coo_kernelILj256ELj128EilEEvT2_PKT1_S4_PS1_21rocsparse_index_base_.kd
    .uniform_work_group_size: 1
    .uses_dynamic_stack: false
    .vgpr_count:     10
    .vgpr_spill_count: 0
    .wavefront_size: 64
  - .args:
      - .offset:         0
        .size:           8
        .value_kind:     by_value
      - .address_space:  global
        .offset:         8
        .size:           8
        .value_kind:     global_buffer
      - .address_space:  global
        .offset:         16
        .size:           8
        .value_kind:     global_buffer
      - .address_space:  global
        .offset:         24
        .size:           8
        .value_kind:     global_buffer
      - .offset:         32
        .size:           4
        .value_kind:     by_value
    .group_segment_fixed_size: 8
    .kernarg_segment_align: 8
    .kernarg_segment_size: 36
    .language:       OpenCL C
    .language_version:
      - 2
      - 0
    .max_flat_workgroup_size: 256
    .name:           _ZN9rocsparseL14csr2coo_kernelILj256ELj256EilEEvT2_PKT1_S4_PS1_21rocsparse_index_base_
    .private_segment_fixed_size: 0
    .sgpr_count:     23
    .sgpr_spill_count: 0
    .symbol:         _ZN9rocsparseL14csr2coo_kernelILj256ELj256EilEEvT2_PKT1_S4_PS1_21rocsparse_index_base_.kd
    .uniform_work_group_size: 1
    .uses_dynamic_stack: false
    .vgpr_count:     9
    .vgpr_spill_count: 0
    .wavefront_size: 64
  - .args:
      - .offset:         0
        .size:           8
        .value_kind:     by_value
      - .address_space:  global
        .offset:         8
        .size:           8
        .value_kind:     global_buffer
      - .address_space:  global
        .offset:         16
        .size:           8
        .value_kind:     global_buffer
      - .address_space:  global
        .offset:         24
        .size:           8
        .value_kind:     global_buffer
      - .offset:         32
        .size:           4
        .value_kind:     by_value
    .group_segment_fixed_size: 516
    .kernarg_segment_align: 8
    .kernarg_segment_size: 36
    .language:       OpenCL C
    .language_version:
      - 2
      - 0
    .max_flat_workgroup_size: 256
    .name:           _ZN9rocsparseL14csr2coo_kernelILj256ELj2EllEEvT2_PKT1_S4_PS1_21rocsparse_index_base_
    .private_segment_fixed_size: 0
    .sgpr_count:     27
    .sgpr_spill_count: 0
    .symbol:         _ZN9rocsparseL14csr2coo_kernelILj256ELj2EllEEvT2_PKT1_S4_PS1_21rocsparse_index_base_.kd
    .uniform_work_group_size: 1
    .uses_dynamic_stack: false
    .vgpr_count:     10
    .vgpr_spill_count: 0
    .wavefront_size: 64
  - .args:
      - .offset:         0
        .size:           8
        .value_kind:     by_value
      - .address_space:  global
        .offset:         8
        .size:           8
        .value_kind:     global_buffer
      - .address_space:  global
        .offset:         16
        .size:           8
        .value_kind:     global_buffer
      - .address_space:  global
        .offset:         24
        .size:           8
        .value_kind:     global_buffer
      - .offset:         32
        .size:           4
        .value_kind:     by_value
    .group_segment_fixed_size: 260
    .kernarg_segment_align: 8
    .kernarg_segment_size: 36
    .language:       OpenCL C
    .language_version:
      - 2
      - 0
    .max_flat_workgroup_size: 256
    .name:           _ZN9rocsparseL14csr2coo_kernelILj256ELj4EllEEvT2_PKT1_S4_PS1_21rocsparse_index_base_
    .private_segment_fixed_size: 0
    .sgpr_count:     27
    .sgpr_spill_count: 0
    .symbol:         _ZN9rocsparseL14csr2coo_kernelILj256ELj4EllEEvT2_PKT1_S4_PS1_21rocsparse_index_base_.kd
    .uniform_work_group_size: 1
    .uses_dynamic_stack: false
    .vgpr_count:     10
    .vgpr_spill_count: 0
    .wavefront_size: 64
  - .args:
      - .offset:         0
        .size:           8
        .value_kind:     by_value
      - .address_space:  global
        .offset:         8
        .size:           8
        .value_kind:     global_buffer
      - .address_space:  global
        .offset:         16
        .size:           8
        .value_kind:     global_buffer
      - .address_space:  global
        .offset:         24
        .size:           8
        .value_kind:     global_buffer
      - .offset:         32
        .size:           4
        .value_kind:     by_value
    .group_segment_fixed_size: 132
    .kernarg_segment_align: 8
    .kernarg_segment_size: 36
    .language:       OpenCL C
    .language_version:
      - 2
      - 0
    .max_flat_workgroup_size: 256
    .name:           _ZN9rocsparseL14csr2coo_kernelILj256ELj8EllEEvT2_PKT1_S4_PS1_21rocsparse_index_base_
    .private_segment_fixed_size: 0
    .sgpr_count:     27
    .sgpr_spill_count: 0
    .symbol:         _ZN9rocsparseL14csr2coo_kernelILj256ELj8EllEEvT2_PKT1_S4_PS1_21rocsparse_index_base_.kd
    .uniform_work_group_size: 1
    .uses_dynamic_stack: false
    .vgpr_count:     10
    .vgpr_spill_count: 0
    .wavefront_size: 64
  - .args:
      - .offset:         0
        .size:           8
        .value_kind:     by_value
      - .address_space:  global
        .offset:         8
        .size:           8
        .value_kind:     global_buffer
      - .address_space:  global
        .offset:         16
        .size:           8
        .value_kind:     global_buffer
      - .address_space:  global
        .offset:         24
        .size:           8
        .value_kind:     global_buffer
      - .offset:         32
        .size:           4
        .value_kind:     by_value
    .group_segment_fixed_size: 68
    .kernarg_segment_align: 8
    .kernarg_segment_size: 36
    .language:       OpenCL C
    .language_version:
      - 2
      - 0
    .max_flat_workgroup_size: 256
    .name:           _ZN9rocsparseL14csr2coo_kernelILj256ELj16EllEEvT2_PKT1_S4_PS1_21rocsparse_index_base_
    .private_segment_fixed_size: 0
    .sgpr_count:     25
    .sgpr_spill_count: 0
    .symbol:         _ZN9rocsparseL14csr2coo_kernelILj256ELj16EllEEvT2_PKT1_S4_PS1_21rocsparse_index_base_.kd
    .uniform_work_group_size: 1
    .uses_dynamic_stack: false
    .vgpr_count:     10
    .vgpr_spill_count: 0
    .wavefront_size: 64
  - .args:
      - .offset:         0
        .size:           8
        .value_kind:     by_value
      - .address_space:  global
        .offset:         8
        .size:           8
        .value_kind:     global_buffer
      - .address_space:  global
        .offset:         16
        .size:           8
        .value_kind:     global_buffer
      - .address_space:  global
        .offset:         24
        .size:           8
        .value_kind:     global_buffer
      - .offset:         32
        .size:           4
        .value_kind:     by_value
    .group_segment_fixed_size: 36
    .kernarg_segment_align: 8
    .kernarg_segment_size: 36
    .language:       OpenCL C
    .language_version:
      - 2
      - 0
    .max_flat_workgroup_size: 256
    .name:           _ZN9rocsparseL14csr2coo_kernelILj256ELj32EllEEvT2_PKT1_S4_PS1_21rocsparse_index_base_
    .private_segment_fixed_size: 0
    .sgpr_count:     25
    .sgpr_spill_count: 0
    .symbol:         _ZN9rocsparseL14csr2coo_kernelILj256ELj32EllEEvT2_PKT1_S4_PS1_21rocsparse_index_base_.kd
    .uniform_work_group_size: 1
    .uses_dynamic_stack: false
    .vgpr_count:     10
    .vgpr_spill_count: 0
    .wavefront_size: 64
  - .args:
      - .offset:         0
        .size:           8
        .value_kind:     by_value
      - .address_space:  global
        .offset:         8
        .size:           8
        .value_kind:     global_buffer
      - .address_space:  global
        .offset:         16
        .size:           8
        .value_kind:     global_buffer
      - .address_space:  global
        .offset:         24
        .size:           8
        .value_kind:     global_buffer
      - .offset:         32
        .size:           4
        .value_kind:     by_value
    .group_segment_fixed_size: 20
    .kernarg_segment_align: 8
    .kernarg_segment_size: 36
    .language:       OpenCL C
    .language_version:
      - 2
      - 0
    .max_flat_workgroup_size: 256
    .name:           _ZN9rocsparseL14csr2coo_kernelILj256ELj64EllEEvT2_PKT1_S4_PS1_21rocsparse_index_base_
    .private_segment_fixed_size: 0
    .sgpr_count:     25
    .sgpr_spill_count: 0
    .symbol:         _ZN9rocsparseL14csr2coo_kernelILj256ELj64EllEEvT2_PKT1_S4_PS1_21rocsparse_index_base_.kd
    .uniform_work_group_size: 1
    .uses_dynamic_stack: false
    .vgpr_count:     10
    .vgpr_spill_count: 0
    .wavefront_size: 64
  - .args:
      - .offset:         0
        .size:           8
        .value_kind:     by_value
      - .address_space:  global
        .offset:         8
        .size:           8
        .value_kind:     global_buffer
      - .address_space:  global
        .offset:         16
        .size:           8
        .value_kind:     global_buffer
      - .address_space:  global
        .offset:         24
        .size:           8
        .value_kind:     global_buffer
      - .offset:         32
        .size:           4
        .value_kind:     by_value
    .group_segment_fixed_size: 12
    .kernarg_segment_align: 8
    .kernarg_segment_size: 36
    .language:       OpenCL C
    .language_version:
      - 2
      - 0
    .max_flat_workgroup_size: 256
    .name:           _ZN9rocsparseL14csr2coo_kernelILj256ELj128EllEEvT2_PKT1_S4_PS1_21rocsparse_index_base_
    .private_segment_fixed_size: 0
    .sgpr_count:     25
    .sgpr_spill_count: 0
    .symbol:         _ZN9rocsparseL14csr2coo_kernelILj256ELj128EllEEvT2_PKT1_S4_PS1_21rocsparse_index_base_.kd
    .uniform_work_group_size: 1
    .uses_dynamic_stack: false
    .vgpr_count:     10
    .vgpr_spill_count: 0
    .wavefront_size: 64
  - .args:
      - .offset:         0
        .size:           8
        .value_kind:     by_value
      - .address_space:  global
        .offset:         8
        .size:           8
        .value_kind:     global_buffer
      - .address_space:  global
        .offset:         16
        .size:           8
        .value_kind:     global_buffer
      - .address_space:  global
        .offset:         24
        .size:           8
        .value_kind:     global_buffer
      - .offset:         32
        .size:           4
        .value_kind:     by_value
    .group_segment_fixed_size: 8
    .kernarg_segment_align: 8
    .kernarg_segment_size: 36
    .language:       OpenCL C
    .language_version:
      - 2
      - 0
    .max_flat_workgroup_size: 256
    .name:           _ZN9rocsparseL14csr2coo_kernelILj256ELj256EllEEvT2_PKT1_S4_PS1_21rocsparse_index_base_
    .private_segment_fixed_size: 0
    .sgpr_count:     25
    .sgpr_spill_count: 0
    .symbol:         _ZN9rocsparseL14csr2coo_kernelILj256ELj256EllEEvT2_PKT1_S4_PS1_21rocsparse_index_base_.kd
    .uniform_work_group_size: 1
    .uses_dynamic_stack: false
    .vgpr_count:     10
    .vgpr_spill_count: 0
    .wavefront_size: 64
amdhsa.target:   amdgcn-amd-amdhsa--gfx906
amdhsa.version:
  - 1
  - 2
...

	.end_amdgpu_metadata
